;; amdgpu-corpus repo=ROCm/rocFFT kind=compiled arch=gfx950 opt=O3
	.text
	.amdgcn_target "amdgcn-amd-amdhsa--gfx950"
	.amdhsa_code_object_version 6
	.protected	bluestein_single_back_len546_dim1_dp_op_CI_CI ; -- Begin function bluestein_single_back_len546_dim1_dp_op_CI_CI
	.globl	bluestein_single_back_len546_dim1_dp_op_CI_CI
	.p2align	8
	.type	bluestein_single_back_len546_dim1_dp_op_CI_CI,@function
bluestein_single_back_len546_dim1_dp_op_CI_CI: ; @bluestein_single_back_len546_dim1_dp_op_CI_CI
; %bb.0:
	s_load_dwordx4 s[12:15], s[0:1], 0x28
	v_mul_u32_u24_e32 v1, 0x691, v0
	v_lshrrev_b32_e32 v2, 16, v1
	v_mad_u64_u32 v[254:255], s[2:3], s2, 3, v[2:3]
	v_mov_b32_e32 v29, 0
	v_mov_b32_e32 v255, v29
	s_waitcnt lgkmcnt(0)
	v_cmp_gt_u64_e32 vcc, s[12:13], v[254:255]
	s_and_saveexec_b64 s[2:3], vcc
	s_cbranch_execz .LBB0_23
; %bb.1:
	s_load_dwordx4 s[4:7], s[0:1], 0x18
	s_load_dwordx2 s[12:13], s[0:1], 0x0
	v_mul_lo_u16_e32 v1, 39, v2
	v_sub_u16_e32 v28, v0, v1
	v_mov_b32_e32 v4, s14
	s_waitcnt lgkmcnt(0)
	s_load_dwordx4 s[8:11], s[4:5], 0x0
	v_mov_b32_e32 v5, s15
	v_accvgpr_write_b32 a2, v28
	v_accvgpr_write_b32 a3, v29
	s_waitcnt lgkmcnt(0)
	v_mad_u64_u32 v[0:1], s[2:3], s10, v254, 0
	v_mov_b32_e32 v6, v1
	v_mad_u64_u32 v[6:7], s[2:3], s11, v254, v[6:7]
	v_mov_b32_e32 v1, v6
	v_mad_u64_u32 v[6:7], s[2:3], s8, v28, 0
	v_mov_b32_e32 v8, v7
	v_mad_u64_u32 v[8:9], s[2:3], s9, v28, v[8:9]
	s_mul_i32 s2, s9, 42
	s_mul_hi_u32 s3, s8, 42
	v_mov_b32_e32 v7, v8
	v_lshl_add_u64 v[0:1], v[0:1], 4, v[4:5]
	s_add_i32 s3, s3, s2
	s_mul_i32 s2, s8, 42
	v_lshl_add_u64 v[0:1], v[6:7], 4, v[0:1]
	v_lshlrev_b32_e32 v4, 4, v28
	s_lshl_b64 s[14:15], s[2:3], 4
	global_load_dwordx4 v[30:33], v4, s[12:13]
	global_load_dwordx4 v[52:55], v[0:1], off
	v_lshl_add_u64 v[0:1], v[0:1], 0, s[14:15]
	global_load_dwordx4 v[56:59], v[0:1], off
	global_load_dwordx4 v[116:119], v4, s[12:13] offset:672
	v_lshl_add_u64 v[0:1], v[0:1], 0, s[14:15]
	global_load_dwordx4 v[34:37], v4, s[12:13] offset:1344
	global_load_dwordx4 v[60:63], v[0:1], off
	v_lshl_add_u64 v[0:1], v[0:1], 0, s[14:15]
	global_load_dwordx4 v[64:67], v[0:1], off
	global_load_dwordx4 v[100:103], v4, s[12:13] offset:2016
	v_lshl_add_u64 v[0:1], v[0:1], 0, s[14:15]
	global_load_dwordx4 v[8:11], v[0:1], off
	global_load_dwordx4 v[38:41], v4, s[12:13] offset:2688
	v_lshl_add_u64 v[0:1], v[0:1], 0, s[14:15]
	v_mov_b32_e32 v5, v29
	global_load_dwordx4 v[12:15], v[0:1], off
	global_load_dwordx4 v[96:99], v4, s[12:13] offset:3360
	v_lshl_add_u64 v[252:253], s[12:13], 0, v[4:5]
	v_lshl_add_u64 v[0:1], v[0:1], 0, s[14:15]
	s_movk_i32 s2, 0x1000
	global_load_dwordx4 v[16:19], v[0:1], off
	global_load_dwordx4 v[42:45], v4, s[12:13] offset:4032
	v_lshl_add_u64 v[6:7], v[0:1], 0, s[14:15]
	v_add_co_u32_e32 v0, vcc, s2, v252
	global_load_dwordx4 v[20:23], v[6:7], off
	s_nop 0
	v_addc_co_u32_e32 v1, vcc, 0, v253, vcc
	global_load_dwordx4 v[108:111], v[0:1], off offset:608
	v_lshl_add_u64 v[6:7], v[6:7], 0, s[14:15]
	global_load_dwordx4 v[24:27], v[6:7], off
	global_load_dwordx4 v[88:91], v[0:1], off offset:1280
	v_lshl_add_u64 v[6:7], v[6:7], 0, s[14:15]
	global_load_dwordx4 v[68:71], v[6:7], off
	global_load_dwordx4 v[104:107], v[0:1], off offset:1952
	global_load_dwordx4 v[46:49], v[0:1], off offset:2624
	v_lshl_add_u64 v[6:7], v[6:7], 0, s[14:15]
	global_load_dwordx4 v[72:75], v[6:7], off
	v_lshl_add_u64 v[6:7], v[6:7], 0, s[14:15]
	global_load_dwordx4 v[76:79], v[6:7], off
	global_load_dwordx4 v[92:95], v[0:1], off offset:3296
	global_load_dwordx4 v[112:115], v[0:1], off offset:3968
	v_lshl_add_u64 v[6:7], v[6:7], 0, s[14:15]
	global_load_dwordx4 v[80:83], v[6:7], off
	s_mov_b32 s2, 0xaaaaaaab
	v_mul_hi_u32 v2, v254, s2
	v_lshrrev_b32_e32 v2, 1, v2
	v_lshl_add_u32 v2, v2, 1, v2
	v_sub_u32_e32 v2, v254, v2
	v_mul_u32_u24_e32 v2, 0x222, v2
	v_lshlrev_b32_e32 v2, 4, v2
	v_add_u32_e32 v255, v4, v2
	s_load_dwordx2 s[10:11], s[0:1], 0x38
	v_accvgpr_write_b32 a56, v2
	s_load_dwordx4 s[4:7], s[6:7], 0x0
	v_cmp_gt_u16_e32 vcc, 3, v28
	s_waitcnt vmcnt(25)
	v_accvgpr_write_b32 a4, v30
	s_waitcnt vmcnt(24)
	v_mul_f64 v[84:85], v[54:55], v[32:33]
	v_mul_f64 v[4:5], v[52:53], v[32:33]
	v_fmac_f64_e32 v[84:85], v[52:53], v[30:31]
	v_fma_f64 v[86:87], v[54:55], v[30:31], -v[4:5]
	s_waitcnt vmcnt(22)
	v_mul_f64 v[52:53], v[58:59], v[118:119]
	v_mul_f64 v[4:5], v[56:57], v[118:119]
	v_fmac_f64_e32 v[52:53], v[56:57], v[116:117]
	v_fma_f64 v[54:55], v[58:59], v[116:117], -v[4:5]
	s_waitcnt vmcnt(20)
	v_mul_f64 v[4:5], v[60:61], v[36:37]
	ds_write_b128 v255, v[52:55] offset:672
	v_fma_f64 v[58:59], v[62:63], v[34:35], -v[4:5]
	s_waitcnt vmcnt(18)
	v_mul_f64 v[52:53], v[66:67], v[102:103]
	v_mul_f64 v[4:5], v[64:65], v[102:103]
	v_fmac_f64_e32 v[52:53], v[64:65], v[100:101]
	v_fma_f64 v[54:55], v[66:67], v[100:101], -v[4:5]
	ds_write_b128 v255, v[52:55] offset:2016
	s_waitcnt vmcnt(16)
	v_mul_f64 v[52:53], v[10:11], v[40:41]
	v_mul_f64 v[4:5], v[8:9], v[40:41]
	v_fmac_f64_e32 v[52:53], v[8:9], v[38:39]
	v_fma_f64 v[54:55], v[10:11], v[38:39], -v[4:5]
	s_waitcnt vmcnt(14)
	v_mul_f64 v[8:9], v[14:15], v[98:99]
	v_mul_f64 v[4:5], v[12:13], v[98:99]
	v_fmac_f64_e32 v[8:9], v[12:13], v[96:97]
	v_fma_f64 v[10:11], v[14:15], v[96:97], -v[4:5]
	ds_write_b128 v255, v[8:11] offset:3360
	s_waitcnt vmcnt(12)
	v_mul_f64 v[8:9], v[18:19], v[44:45]
	v_mul_f64 v[4:5], v[16:17], v[44:45]
	v_fmac_f64_e32 v[8:9], v[16:17], v[42:43]
	v_fma_f64 v[10:11], v[18:19], v[42:43], -v[4:5]
	ds_write_b128 v255, v[8:11] offset:4032
	;; [unrolled: 6-line block ×6, first 2 shown]
	s_waitcnt vmcnt(2)
	v_mul_f64 v[8:9], v[78:79], v[94:95]
	v_mul_f64 v[4:5], v[76:77], v[94:95]
	v_fmac_f64_e32 v[8:9], v[76:77], v[92:93]
	v_fma_f64 v[10:11], v[78:79], v[92:93], -v[4:5]
	v_accvgpr_write_b32 a52, v116
	v_mul_f64 v[56:57], v[62:63], v[36:37]
	v_accvgpr_write_b32 a8, v34
	v_accvgpr_write_b32 a36, v100
	;; [unrolled: 1-line block ×10, first 2 shown]
	ds_write_b128 v255, v[8:11] offset:7392
	s_waitcnt vmcnt(0)
	v_mul_f64 v[8:9], v[82:83], v[114:115]
	v_mul_f64 v[4:5], v[80:81], v[114:115]
	v_accvgpr_write_b32 a48, v112
	v_accvgpr_write_b32 a5, v31
	;; [unrolled: 1-line block ×7, first 2 shown]
	v_fmac_f64_e32 v[56:57], v[60:61], v[34:35]
	v_accvgpr_write_b32 a9, v35
	v_accvgpr_write_b32 a10, v36
	;; [unrolled: 1-line block ×30, first 2 shown]
	v_fmac_f64_e32 v[8:9], v[80:81], v[112:113]
	v_accvgpr_write_b32 a49, v113
	v_accvgpr_write_b32 a50, v114
	;; [unrolled: 1-line block ×3, first 2 shown]
	v_fma_f64 v[10:11], v[82:83], v[112:113], -v[4:5]
	ds_write_b128 v255, v[84:87]
	ds_write_b128 v255, v[56:59] offset:1344
	ds_write_b128 v255, v[52:55] offset:2688
	;; [unrolled: 1-line block ×3, first 2 shown]
	s_and_saveexec_b64 s[16:17], vcc
	s_cbranch_execz .LBB0_3
; %bb.2:
	v_mov_b32_e32 v2, 0xffffe2f0
	v_mad_u64_u32 v[4:5], s[2:3], s8, v2, v[6:7]
	s_mul_i32 s2, s9, 0xffffe2f0
	s_sub_i32 s2, s2, s8
	v_add_u32_e32 v5, s2, v5
	global_load_dwordx4 v[52:55], v[4:5], off
	global_load_dwordx4 v[56:59], v[252:253], off offset:624
	v_lshl_add_u64 v[4:5], v[4:5], 0, s[14:15]
	global_load_dwordx4 v[60:63], v[4:5], off
	global_load_dwordx4 v[64:67], v[252:253], off offset:1296
	v_lshl_add_u64 v[4:5], v[4:5], 0, s[14:15]
	global_load_dwordx4 v[68:71], v[4:5], off
	global_load_dwordx4 v[72:75], v[252:253], off offset:1968
	global_load_dwordx4 v[76:79], v[252:253], off offset:2640
	v_lshl_add_u64 v[4:5], v[4:5], 0, s[14:15]
	global_load_dwordx4 v[80:83], v[4:5], off
	v_lshl_add_u64 v[16:17], v[4:5], 0, s[14:15]
	v_lshl_add_u64 v[20:21], v[16:17], 0, s[14:15]
	global_load_dwordx4 v[4:7], v[16:17], off
	global_load_dwordx4 v[8:11], v[252:253], off offset:3312
	global_load_dwordx4 v[12:15], v[252:253], off offset:3984
	v_lshl_add_u64 v[28:29], v[20:21], 0, s[14:15]
	global_load_dwordx4 v[16:19], v[20:21], off
	s_nop 0
	global_load_dwordx4 v[20:23], v[28:29], off
	global_load_dwordx4 v[24:27], v[0:1], off offset:560
	global_load_dwordx4 v[84:87], v[0:1], off offset:1232
	v_lshl_add_u64 v[28:29], v[28:29], 0, s[14:15]
	global_load_dwordx4 v[88:91], v[28:29], off
	v_lshl_add_u64 v[28:29], v[28:29], 0, s[14:15]
	global_load_dwordx4 v[92:95], v[28:29], off
	global_load_dwordx4 v[96:99], v[0:1], off offset:1904
	global_load_dwordx4 v[100:103], v[0:1], off offset:2576
	v_lshl_add_u64 v[28:29], v[28:29], 0, s[14:15]
	global_load_dwordx4 v[104:107], v[28:29], off
	global_load_dwordx4 v[108:111], v[0:1], off offset:3248
	global_load_dwordx4 v[112:115], v[0:1], off offset:3920
	v_lshl_add_u64 v[0:1], v[28:29], 0, s[14:15]
	global_load_dwordx4 v[116:119], v[0:1], off
	s_movk_i32 s2, 0x2000
	v_lshl_add_u64 v[0:1], v[0:1], 0, s[14:15]
	global_load_dwordx4 v[120:123], v[0:1], off
	v_add_co_u32_e64 v28, s[2:3], s2, v252
	v_lshl_add_u64 v[0:1], v[0:1], 0, s[14:15]
	s_nop 0
	v_addc_co_u32_e64 v29, s[2:3], 0, v253, s[2:3]
	global_load_dwordx4 v[124:127], v[28:29], off offset:496
	global_load_dwordx4 v[128:131], v[0:1], off
	s_waitcnt vmcnt(24)
	v_mul_f64 v[0:1], v[52:53], v[58:59]
	v_mul_f64 v[132:133], v[54:55], v[58:59]
	v_fma_f64 v[134:135], v[54:55], v[56:57], -v[0:1]
	s_waitcnt vmcnt(22)
	v_mul_f64 v[0:1], v[60:61], v[66:67]
	v_fmac_f64_e32 v[132:133], v[52:53], v[56:57]
	v_mul_f64 v[52:53], v[62:63], v[66:67]
	v_fma_f64 v[54:55], v[62:63], v[64:65], -v[0:1]
	s_waitcnt vmcnt(20)
	v_mul_f64 v[56:57], v[70:71], v[74:75]
	v_mul_f64 v[0:1], v[68:69], v[74:75]
	v_fmac_f64_e32 v[52:53], v[60:61], v[64:65]
	v_fmac_f64_e32 v[56:57], v[68:69], v[72:73]
	v_fma_f64 v[58:59], v[70:71], v[72:73], -v[0:1]
	s_waitcnt vmcnt(18)
	v_mul_f64 v[0:1], v[80:81], v[78:79]
	ds_write_b128 v255, v[52:55] offset:1296
	ds_write_b128 v255, v[56:59] offset:1968
	v_fma_f64 v[54:55], v[82:83], v[76:77], -v[0:1]
	s_waitcnt vmcnt(16)
	v_mul_f64 v[56:57], v[6:7], v[10:11]
	v_mul_f64 v[0:1], v[4:5], v[10:11]
	v_fmac_f64_e32 v[56:57], v[4:5], v[8:9]
	v_fma_f64 v[58:59], v[6:7], v[8:9], -v[0:1]
	s_waitcnt vmcnt(14)
	v_mul_f64 v[4:5], v[18:19], v[14:15]
	v_mul_f64 v[0:1], v[16:17], v[14:15]
	v_fmac_f64_e32 v[4:5], v[16:17], v[12:13]
	v_fma_f64 v[6:7], v[18:19], v[12:13], -v[0:1]
	s_waitcnt vmcnt(12)
	v_mul_f64 v[0:1], v[20:21], v[26:27]
	v_mul_f64 v[8:9], v[22:23], v[26:27]
	ds_write_b128 v255, v[4:7] offset:3984
	v_fma_f64 v[10:11], v[22:23], v[24:25], -v[0:1]
	s_waitcnt vmcnt(10)
	v_mul_f64 v[4:5], v[90:91], v[86:87]
	v_mul_f64 v[0:1], v[88:89], v[86:87]
	v_fmac_f64_e32 v[8:9], v[20:21], v[24:25]
	v_fmac_f64_e32 v[4:5], v[88:89], v[84:85]
	v_fma_f64 v[6:7], v[90:91], v[84:85], -v[0:1]
	s_waitcnt vmcnt(8)
	v_mul_f64 v[0:1], v[92:93], v[98:99]
	ds_write_b128 v255, v[8:11] offset:4656
	ds_write_b128 v255, v[4:7] offset:5328
	v_fma_f64 v[10:11], v[94:95], v[96:97], -v[0:1]
	s_waitcnt vmcnt(6)
	v_mul_f64 v[4:5], v[106:107], v[102:103]
	v_mul_f64 v[0:1], v[104:105], v[102:103]
	v_fmac_f64_e32 v[4:5], v[104:105], v[100:101]
	v_fma_f64 v[6:7], v[106:107], v[100:101], -v[0:1]
	ds_write_b128 v255, v[4:7] offset:6672
	s_waitcnt vmcnt(3)
	v_mul_f64 v[4:5], v[118:119], v[110:111]
	v_mul_f64 v[0:1], v[116:117], v[110:111]
	v_fmac_f64_e32 v[4:5], v[116:117], v[108:109]
	v_fma_f64 v[6:7], v[118:119], v[108:109], -v[0:1]
	ds_write_b128 v255, v[4:7] offset:7344
	s_waitcnt vmcnt(2)
	v_mul_f64 v[4:5], v[122:123], v[114:115]
	v_mul_f64 v[0:1], v[120:121], v[114:115]
	v_fmac_f64_e32 v[4:5], v[120:121], v[112:113]
	v_fma_f64 v[6:7], v[122:123], v[112:113], -v[0:1]
	v_mul_f64 v[52:53], v[82:83], v[78:79]
	v_mul_f64 v[8:9], v[94:95], v[98:99]
	ds_write_b128 v255, v[4:7] offset:8016
	s_waitcnt vmcnt(0)
	v_mul_f64 v[4:5], v[130:131], v[126:127]
	v_mul_f64 v[0:1], v[128:129], v[126:127]
	v_fmac_f64_e32 v[52:53], v[80:81], v[76:77]
	v_fmac_f64_e32 v[8:9], v[92:93], v[96:97]
	;; [unrolled: 1-line block ×3, first 2 shown]
	v_fma_f64 v[6:7], v[130:131], v[124:125], -v[0:1]
	ds_write_b128 v255, v[132:135] offset:624
	ds_write_b128 v255, v[52:55] offset:2640
	;; [unrolled: 1-line block ×5, first 2 shown]
.LBB0_3:
	s_or_b64 exec, exec, s[16:17]
	s_waitcnt lgkmcnt(0)
	s_barrier
	ds_read_b128 v[144:147], v255
	ds_read_b128 v[152:155], v255 offset:672
	ds_read_b128 v[140:143], v255 offset:1344
	;; [unrolled: 1-line block ×12, first 2 shown]
                                        ; implicit-def: $vgpr84_vgpr85
                                        ; implicit-def: $vgpr96_vgpr97
                                        ; implicit-def: $vgpr88_vgpr89
                                        ; implicit-def: $vgpr72_vgpr73
                                        ; implicit-def: $vgpr68_vgpr69
                                        ; implicit-def: $vgpr60_vgpr61
                                        ; implicit-def: $vgpr52_vgpr53
                                        ; implicit-def: $vgpr56_vgpr57
                                        ; implicit-def: $vgpr64_vgpr65
                                        ; implicit-def: $vgpr76_vgpr77
                                        ; implicit-def: $vgpr92_vgpr93
                                        ; implicit-def: $vgpr100_vgpr101
                                        ; implicit-def: $vgpr116_vgpr117
	s_and_saveexec_b64 s[2:3], vcc
	s_cbranch_execz .LBB0_5
; %bb.4:
	ds_read_b128 v[84:87], v255 offset:624
	ds_read_b128 v[96:99], v255 offset:1296
	;; [unrolled: 1-line block ×13, first 2 shown]
.LBB0_5:
	s_or_b64 exec, exec, s[2:3]
	s_waitcnt lgkmcnt(11)
	v_add_f64 v[4:5], v[144:145], v[152:153]
	s_waitcnt lgkmcnt(10)
	v_add_f64 v[4:5], v[4:5], v[140:141]
	v_add_f64 v[6:7], v[146:147], v[154:155]
	s_waitcnt lgkmcnt(9)
	v_add_f64 v[4:5], v[4:5], v[132:133]
	v_add_f64 v[6:7], v[6:7], v[142:143]
	s_waitcnt lgkmcnt(8)
	v_add_f64 v[4:5], v[4:5], v[124:125]
	v_add_f64 v[6:7], v[6:7], v[134:135]
	s_waitcnt lgkmcnt(7)
	v_add_f64 v[4:5], v[4:5], v[112:113]
	v_add_f64 v[6:7], v[6:7], v[126:127]
	s_waitcnt lgkmcnt(6)
	v_add_f64 v[4:5], v[4:5], v[104:105]
	v_add_f64 v[6:7], v[6:7], v[114:115]
	s_waitcnt lgkmcnt(5)
	v_add_f64 v[4:5], v[4:5], v[108:109]
	v_add_f64 v[6:7], v[6:7], v[106:107]
	s_waitcnt lgkmcnt(4)
	v_add_f64 v[4:5], v[4:5], v[120:121]
	v_add_f64 v[6:7], v[6:7], v[110:111]
	s_waitcnt lgkmcnt(3)
	v_add_f64 v[4:5], v[4:5], v[128:129]
	v_add_f64 v[6:7], v[6:7], v[122:123]
	s_waitcnt lgkmcnt(2)
	v_add_f64 v[4:5], v[4:5], v[136:137]
	s_mov_b32 s42, 0x4267c47c
	s_mov_b32 s24, 0x42a4c3d2
	s_mov_b32 s34, 0x66966769
	s_mov_b32 s16, 0x2ef20147
	s_mov_b32 s20, 0x24c2f84
	s_mov_b32 s26, 0x4bc48dbf
	v_add_f64 v[6:7], v[6:7], v[130:131]
	s_waitcnt lgkmcnt(1)
	v_add_f64 v[4:5], v[4:5], v[148:149]
	s_waitcnt lgkmcnt(0)
	v_add_f64 v[10:11], v[154:155], -v[158:159]
	s_mov_b32 s43, 0xbfddbe06
	s_mov_b32 s25, 0xbfea55e2
	;; [unrolled: 1-line block ×7, first 2 shown]
	s_load_dwordx2 s[2:3], s[0:1], 0x8
	v_add_f64 v[6:7], v[6:7], v[138:139]
	v_add_f64 v[80:81], v[4:5], v[156:157]
	;; [unrolled: 1-line block ×3, first 2 shown]
	v_mul_f64 v[12:13], v[10:11], s[42:43]
	s_mov_b32 s14, 0xe00740e9
	v_mul_f64 v[20:21], v[10:11], s[24:25]
	s_mov_b32 s8, 0x1ea71119
	;; [unrolled: 2-line block ×6, first 2 shown]
	v_add_f64 v[6:7], v[6:7], v[150:151]
	v_add_f64 v[8:9], v[152:153], -v[156:157]
	s_mov_b32 s15, 0x3fec55a7
	s_mov_b32 s9, 0x3fe22d96
	;; [unrolled: 1-line block ×5, first 2 shown]
	v_fma_f64 v[152:153], v[4:5], s[28:29], -v[10:11]
	v_fmac_f64_e32 v[10:11], s[28:29], v[4:5]
	v_add_f64 v[82:83], v[6:7], v[158:159]
	v_add_f64 v[6:7], v[154:155], v[158:159]
	v_fma_f64 v[14:15], v[4:5], s[14:15], -v[12:13]
	v_mul_f64 v[16:17], v[8:9], s[42:43]
	v_fmac_f64_e32 v[12:13], s[14:15], v[4:5]
	v_fma_f64 v[22:23], v[4:5], s[8:9], -v[20:21]
	v_mul_f64 v[24:25], v[8:9], s[24:25]
	v_fmac_f64_e32 v[20:21], s[8:9], v[4:5]
	;; [unrolled: 3-line block ×5, first 2 shown]
	v_mul_f64 v[8:9], v[8:9], s[26:27]
	v_add_f64 v[4:5], v[144:145], v[10:11]
	v_add_f64 v[10:11], v[142:143], v[150:151]
	v_add_f64 v[142:143], v[142:143], -v[150:151]
	v_add_f64 v[14:15], v[144:145], v[14:15]
	v_fma_f64 v[18:19], s[14:15], v[6:7], v[16:17]
	v_add_f64 v[12:13], v[144:145], v[12:13]
	v_fma_f64 v[16:17], v[6:7], s[14:15], -v[16:17]
	v_add_f64 v[22:23], v[144:145], v[22:23]
	v_fma_f64 v[26:27], s[8:9], v[6:7], v[24:25]
	v_add_f64 v[20:21], v[144:145], v[20:21]
	v_fma_f64 v[24:25], v[6:7], s[8:9], -v[24:25]
	;; [unrolled: 4-line block ×5, first 2 shown]
	v_add_f64 v[152:153], v[144:145], v[152:153]
	v_fma_f64 v[154:155], s[28:29], v[6:7], v[8:9]
	v_fma_f64 v[6:7], v[6:7], s[28:29], -v[8:9]
	v_add_f64 v[8:9], v[140:141], v[148:149]
	v_mul_f64 v[144:145], v[142:143], s[24:25]
	v_add_f64 v[18:19], v[146:147], v[18:19]
	v_add_f64 v[16:17], v[146:147], v[16:17]
	;; [unrolled: 1-line block ×12, first 2 shown]
	v_add_f64 v[140:141], v[140:141], -v[148:149]
	v_fma_f64 v[146:147], v[8:9], s[8:9], -v[144:145]
	v_add_f64 v[14:15], v[146:147], v[14:15]
	v_mul_f64 v[146:147], v[140:141], s[24:25]
	v_fmac_f64_e32 v[144:145], s[8:9], v[8:9]
	v_add_f64 v[12:13], v[144:145], v[12:13]
	v_fma_f64 v[144:145], v[10:11], s[8:9], -v[146:147]
	v_add_f64 v[16:17], v[144:145], v[16:17]
	v_mul_f64 v[144:145], v[142:143], s[16:17]
	v_fma_f64 v[148:149], s[8:9], v[10:11], v[146:147]
	v_fma_f64 v[146:147], v[8:9], s[18:19], -v[144:145]
	v_add_f64 v[22:23], v[146:147], v[22:23]
	v_mul_f64 v[146:147], v[140:141], s[16:17]
	v_fmac_f64_e32 v[144:145], s[18:19], v[8:9]
	v_add_f64 v[20:21], v[144:145], v[20:21]
	v_fma_f64 v[144:145], v[10:11], s[18:19], -v[146:147]
	v_add_f64 v[24:25], v[144:145], v[24:25]
	v_mul_f64 v[144:145], v[142:143], s[26:27]
	v_add_f64 v[18:19], v[148:149], v[18:19]
	v_fma_f64 v[148:149], s[18:19], v[10:11], v[146:147]
	v_fma_f64 v[146:147], v[8:9], s[28:29], -v[144:145]
	v_add_f64 v[30:31], v[146:147], v[30:31]
	v_mul_f64 v[146:147], v[140:141], s[26:27]
	v_fmac_f64_e32 v[144:145], s[28:29], v[8:9]
	v_add_f64 v[28:29], v[144:145], v[28:29]
	v_fma_f64 v[144:145], v[10:11], s[28:29], -v[146:147]
	s_mov_b32 s39, 0x3fe5384d
	s_mov_b32 s38, s20
	v_add_f64 v[32:33], v[144:145], v[32:33]
	v_mul_f64 v[144:145], v[142:143], s[38:39]
	v_add_f64 v[26:27], v[148:149], v[26:27]
	v_fma_f64 v[148:149], s[28:29], v[10:11], v[146:147]
	v_fma_f64 v[146:147], v[8:9], s[22:23], -v[144:145]
	v_add_f64 v[38:39], v[146:147], v[38:39]
	v_mul_f64 v[146:147], v[140:141], s[38:39]
	v_fmac_f64_e32 v[144:145], s[22:23], v[8:9]
	v_add_f64 v[36:37], v[144:145], v[36:37]
	v_fma_f64 v[144:145], v[10:11], s[22:23], -v[146:147]
	s_mov_b32 s31, 0x3fefc445
	s_mov_b32 s30, s34
	v_add_f64 v[40:41], v[144:145], v[40:41]
	v_mul_f64 v[144:145], v[142:143], s[30:31]
	v_add_f64 v[34:35], v[148:149], v[34:35]
	v_fma_f64 v[148:149], s[22:23], v[10:11], v[146:147]
	v_fma_f64 v[146:147], v[8:9], s[0:1], -v[144:145]
	v_add_f64 v[46:47], v[146:147], v[46:47]
	v_mul_f64 v[146:147], v[140:141], s[30:31]
	v_fmac_f64_e32 v[144:145], s[0:1], v[8:9]
	s_mov_b32 s37, 0x3fddbe06
	s_mov_b32 s36, s42
	v_add_f64 v[44:45], v[144:145], v[44:45]
	v_fma_f64 v[144:145], v[10:11], s[0:1], -v[146:147]
	v_mul_f64 v[142:143], v[142:143], s[36:37]
	v_mul_f64 v[140:141], v[140:141], s[36:37]
	v_add_f64 v[42:43], v[148:149], v[42:43]
	v_fma_f64 v[148:149], s[0:1], v[10:11], v[146:147]
	v_add_f64 v[48:49], v[144:145], v[48:49]
	v_fma_f64 v[144:145], v[8:9], s[14:15], -v[142:143]
	v_fma_f64 v[146:147], s[14:15], v[10:11], v[140:141]
	v_fmac_f64_e32 v[142:143], s[14:15], v[8:9]
	v_fma_f64 v[8:9], v[10:11], s[14:15], -v[140:141]
	v_add_f64 v[10:11], v[134:135], v[138:139]
	v_add_f64 v[134:135], v[134:135], -v[138:139]
	v_add_f64 v[6:7], v[8:9], v[6:7]
	v_add_f64 v[8:9], v[132:133], v[136:137]
	v_add_f64 v[132:133], v[132:133], -v[136:137]
	v_mul_f64 v[136:137], v[134:135], s[34:35]
	v_fma_f64 v[138:139], v[8:9], s[0:1], -v[136:137]
	v_add_f64 v[14:15], v[138:139], v[14:15]
	v_mul_f64 v[138:139], v[132:133], s[34:35]
	v_fmac_f64_e32 v[136:137], s[0:1], v[8:9]
	v_add_f64 v[12:13], v[136:137], v[12:13]
	v_fma_f64 v[136:137], v[10:11], s[0:1], -v[138:139]
	v_add_f64 v[16:17], v[136:137], v[16:17]
	v_mul_f64 v[136:137], v[134:135], s[26:27]
	v_fma_f64 v[140:141], s[0:1], v[10:11], v[138:139]
	v_fma_f64 v[138:139], v[8:9], s[28:29], -v[136:137]
	v_add_f64 v[22:23], v[138:139], v[22:23]
	v_mul_f64 v[138:139], v[132:133], s[26:27]
	v_fmac_f64_e32 v[136:137], s[28:29], v[8:9]
	v_add_f64 v[20:21], v[136:137], v[20:21]
	v_fma_f64 v[136:137], v[10:11], s[28:29], -v[138:139]
	s_mov_b32 s47, 0x3fedeba7
	s_mov_b32 s46, s16
	v_add_f64 v[24:25], v[136:137], v[24:25]
	v_mul_f64 v[136:137], v[134:135], s[46:47]
	v_add_f64 v[18:19], v[140:141], v[18:19]
	v_fma_f64 v[140:141], s[28:29], v[10:11], v[138:139]
	v_fma_f64 v[138:139], v[8:9], s[18:19], -v[136:137]
	v_add_f64 v[30:31], v[138:139], v[30:31]
	v_mul_f64 v[138:139], v[132:133], s[46:47]
	v_fmac_f64_e32 v[136:137], s[18:19], v[8:9]
	v_add_f64 v[28:29], v[136:137], v[28:29]
	v_fma_f64 v[136:137], v[10:11], s[18:19], -v[138:139]
	v_add_f64 v[32:33], v[136:137], v[32:33]
	v_mul_f64 v[136:137], v[134:135], s[36:37]
	v_add_f64 v[26:27], v[140:141], v[26:27]
	v_fma_f64 v[140:141], s[18:19], v[10:11], v[138:139]
	v_fma_f64 v[138:139], v[8:9], s[14:15], -v[136:137]
	v_add_f64 v[38:39], v[138:139], v[38:39]
	v_mul_f64 v[138:139], v[132:133], s[36:37]
	v_fmac_f64_e32 v[136:137], s[14:15], v[8:9]
	v_add_f64 v[36:37], v[136:137], v[36:37]
	v_fma_f64 v[136:137], v[10:11], s[14:15], -v[138:139]
	;; [unrolled: 10-line block ×3, first 2 shown]
	v_mul_f64 v[134:135], v[134:135], s[20:21]
	v_mul_f64 v[132:133], v[132:133], s[20:21]
	v_add_f64 v[42:43], v[140:141], v[42:43]
	v_fma_f64 v[140:141], s[8:9], v[10:11], v[138:139]
	v_add_f64 v[48:49], v[136:137], v[48:49]
	v_fma_f64 v[136:137], v[8:9], s[22:23], -v[134:135]
	v_fma_f64 v[138:139], s[22:23], v[10:11], v[132:133]
	v_fmac_f64_e32 v[134:135], s[22:23], v[8:9]
	v_fma_f64 v[8:9], v[10:11], s[22:23], -v[132:133]
	v_add_f64 v[10:11], v[126:127], v[130:131]
	v_add_f64 v[126:127], v[126:127], -v[130:131]
	v_add_f64 v[6:7], v[8:9], v[6:7]
	v_add_f64 v[8:9], v[124:125], v[128:129]
	v_add_f64 v[124:125], v[124:125], -v[128:129]
	v_mul_f64 v[128:129], v[126:127], s[16:17]
	v_fma_f64 v[130:131], v[8:9], s[18:19], -v[128:129]
	v_add_f64 v[14:15], v[130:131], v[14:15]
	v_mul_f64 v[130:131], v[124:125], s[16:17]
	v_fmac_f64_e32 v[128:129], s[18:19], v[8:9]
	v_add_f64 v[12:13], v[128:129], v[12:13]
	v_fma_f64 v[128:129], v[10:11], s[18:19], -v[130:131]
	v_add_f64 v[16:17], v[128:129], v[16:17]
	v_mul_f64 v[128:129], v[126:127], s[38:39]
	v_fma_f64 v[132:133], s[18:19], v[10:11], v[130:131]
	v_fma_f64 v[130:131], v[8:9], s[22:23], -v[128:129]
	v_add_f64 v[22:23], v[130:131], v[22:23]
	v_mul_f64 v[130:131], v[124:125], s[38:39]
	v_fmac_f64_e32 v[128:129], s[22:23], v[8:9]
	v_add_f64 v[20:21], v[128:129], v[20:21]
	v_fma_f64 v[128:129], v[10:11], s[22:23], -v[130:131]
	v_add_f64 v[24:25], v[128:129], v[24:25]
	v_mul_f64 v[128:129], v[126:127], s[36:37]
	v_add_f64 v[18:19], v[132:133], v[18:19]
	v_fma_f64 v[132:133], s[22:23], v[10:11], v[130:131]
	v_fma_f64 v[130:131], v[8:9], s[14:15], -v[128:129]
	v_add_f64 v[30:31], v[130:131], v[30:31]
	v_mul_f64 v[130:131], v[124:125], s[36:37]
	v_fmac_f64_e32 v[128:129], s[14:15], v[8:9]
	v_add_f64 v[28:29], v[128:129], v[28:29]
	v_fma_f64 v[128:129], v[10:11], s[14:15], -v[130:131]
	v_add_f64 v[32:33], v[128:129], v[32:33]
	v_mul_f64 v[128:129], v[126:127], s[34:35]
	v_add_f64 v[26:27], v[132:133], v[26:27]
	v_fma_f64 v[132:133], s[14:15], v[10:11], v[130:131]
	v_fma_f64 v[130:131], v[8:9], s[0:1], -v[128:129]
	v_add_f64 v[38:39], v[130:131], v[38:39]
	v_mul_f64 v[130:131], v[124:125], s[34:35]
	v_fmac_f64_e32 v[128:129], s[0:1], v[8:9]
	v_add_f64 v[36:37], v[128:129], v[36:37]
	v_fma_f64 v[128:129], v[10:11], s[0:1], -v[130:131]
	s_mov_b32 s45, 0x3fcea1e5
	s_mov_b32 s44, s26
	v_add_f64 v[40:41], v[128:129], v[40:41]
	v_mul_f64 v[128:129], v[126:127], s[44:45]
	v_add_f64 v[34:35], v[132:133], v[34:35]
	v_fma_f64 v[132:133], s[0:1], v[10:11], v[130:131]
	v_fma_f64 v[130:131], v[8:9], s[28:29], -v[128:129]
	v_add_f64 v[46:47], v[130:131], v[46:47]
	v_mul_f64 v[130:131], v[124:125], s[44:45]
	v_fmac_f64_e32 v[128:129], s[28:29], v[8:9]
	s_mov_b32 s41, 0x3fea55e2
	s_mov_b32 s40, s24
	v_add_f64 v[44:45], v[128:129], v[44:45]
	v_fma_f64 v[128:129], v[10:11], s[28:29], -v[130:131]
	v_mul_f64 v[126:127], v[126:127], s[40:41]
	v_mul_f64 v[124:125], v[124:125], s[40:41]
	v_add_f64 v[42:43], v[132:133], v[42:43]
	v_fma_f64 v[132:133], s[28:29], v[10:11], v[130:131]
	v_add_f64 v[48:49], v[128:129], v[48:49]
	v_fma_f64 v[128:129], v[8:9], s[8:9], -v[126:127]
	v_fma_f64 v[130:131], s[8:9], v[10:11], v[124:125]
	v_fmac_f64_e32 v[126:127], s[8:9], v[8:9]
	v_fma_f64 v[8:9], v[10:11], s[8:9], -v[124:125]
	v_add_f64 v[10:11], v[114:115], v[122:123]
	v_add_f64 v[114:115], v[114:115], -v[122:123]
	v_add_f64 v[6:7], v[8:9], v[6:7]
	v_add_f64 v[8:9], v[112:113], v[120:121]
	v_add_f64 v[112:113], v[112:113], -v[120:121]
	v_mul_f64 v[120:121], v[114:115], s[20:21]
	v_fma_f64 v[122:123], v[8:9], s[22:23], -v[120:121]
	v_add_f64 v[14:15], v[122:123], v[14:15]
	v_mul_f64 v[122:123], v[112:113], s[20:21]
	v_fmac_f64_e32 v[120:121], s[22:23], v[8:9]
	v_add_f64 v[12:13], v[120:121], v[12:13]
	v_fma_f64 v[120:121], v[10:11], s[22:23], -v[122:123]
	v_add_f64 v[16:17], v[120:121], v[16:17]
	v_mul_f64 v[120:121], v[114:115], s[30:31]
	v_fma_f64 v[124:125], s[22:23], v[10:11], v[122:123]
	v_fma_f64 v[122:123], v[8:9], s[0:1], -v[120:121]
	v_add_f64 v[22:23], v[122:123], v[22:23]
	v_mul_f64 v[122:123], v[112:113], s[30:31]
	v_fmac_f64_e32 v[120:121], s[0:1], v[8:9]
	v_add_f64 v[20:21], v[120:121], v[20:21]
	v_fma_f64 v[120:121], v[10:11], s[0:1], -v[122:123]
	v_add_f64 v[24:25], v[120:121], v[24:25]
	v_mul_f64 v[120:121], v[114:115], s[24:25]
	v_add_f64 v[18:19], v[124:125], v[18:19]
	v_fma_f64 v[124:125], s[0:1], v[10:11], v[122:123]
	v_fma_f64 v[122:123], v[8:9], s[8:9], -v[120:121]
	v_add_f64 v[30:31], v[122:123], v[30:31]
	v_mul_f64 v[122:123], v[112:113], s[24:25]
	v_fmac_f64_e32 v[120:121], s[8:9], v[8:9]
	v_add_f64 v[28:29], v[120:121], v[28:29]
	v_fma_f64 v[120:121], v[10:11], s[8:9], -v[122:123]
	v_add_f64 v[32:33], v[120:121], v[32:33]
	v_mul_f64 v[120:121], v[114:115], s[44:45]
	v_add_f64 v[26:27], v[124:125], v[26:27]
	;; [unrolled: 10-line block ×3, first 2 shown]
	v_fma_f64 v[124:125], s[28:29], v[10:11], v[122:123]
	v_fma_f64 v[122:123], v[8:9], s[14:15], -v[120:121]
	v_add_f64 v[46:47], v[122:123], v[46:47]
	v_mul_f64 v[122:123], v[112:113], s[36:37]
	v_fmac_f64_e32 v[120:121], s[14:15], v[8:9]
	v_add_f64 v[44:45], v[120:121], v[44:45]
	v_fma_f64 v[120:121], v[10:11], s[14:15], -v[122:123]
	v_mul_f64 v[114:115], v[114:115], s[16:17]
	v_mul_f64 v[112:113], v[112:113], s[16:17]
	v_add_f64 v[42:43], v[124:125], v[42:43]
	v_fma_f64 v[124:125], s[14:15], v[10:11], v[122:123]
	v_add_f64 v[48:49], v[120:121], v[48:49]
	v_fma_f64 v[120:121], v[8:9], s[18:19], -v[114:115]
	v_fma_f64 v[122:123], s[18:19], v[10:11], v[112:113]
	v_fmac_f64_e32 v[114:115], s[18:19], v[8:9]
	v_fma_f64 v[8:9], v[10:11], s[18:19], -v[112:113]
	v_add_f64 v[10:11], v[106:107], v[110:111]
	v_add_f64 v[110:111], v[106:107], -v[110:111]
	v_add_f64 v[50:51], v[148:149], v[50:51]
	v_add_f64 v[6:7], v[8:9], v[6:7]
	;; [unrolled: 1-line block ×3, first 2 shown]
	v_add_f64 v[108:109], v[104:105], -v[108:109]
	v_mul_f64 v[104:105], v[110:111], s[26:27]
	v_add_f64 v[50:51], v[140:141], v[50:51]
	v_fma_f64 v[106:107], v[8:9], s[28:29], -v[104:105]
	v_add_f64 v[50:51], v[132:133], v[50:51]
	v_add_f64 v[132:133], v[106:107], v[14:15]
	v_mul_f64 v[14:15], v[108:109], s[26:27]
	v_fmac_f64_e32 v[104:105], s[28:29], v[8:9]
	v_add_f64 v[4:5], v[142:143], v[4:5]
	v_fma_f64 v[106:107], s[28:29], v[10:11], v[14:15]
	v_add_f64 v[104:105], v[104:105], v[12:13]
	v_fma_f64 v[12:13], v[10:11], s[28:29], -v[14:15]
	v_add_f64 v[4:5], v[134:135], v[4:5]
	v_add_f64 v[134:135], v[106:107], v[18:19]
	v_add_f64 v[106:107], v[12:13], v[16:17]
	v_mul_f64 v[12:13], v[110:111], s[36:37]
	v_fma_f64 v[14:15], v[8:9], s[14:15], -v[12:13]
	v_add_f64 v[164:165], v[14:15], v[22:23]
	v_mul_f64 v[14:15], v[108:109], s[36:37]
	v_fmac_f64_e32 v[12:13], s[14:15], v[8:9]
	v_add_f64 v[50:51], v[124:125], v[50:51]
	v_add_f64 v[124:125], v[12:13], v[20:21]
	v_fma_f64 v[12:13], v[10:11], s[14:15], -v[14:15]
	v_add_f64 v[4:5], v[126:127], v[4:5]
	v_add_f64 v[126:127], v[12:13], v[24:25]
	v_mul_f64 v[12:13], v[110:111], s[20:21]
	v_fma_f64 v[16:17], s[14:15], v[10:11], v[14:15]
	v_fma_f64 v[14:15], v[8:9], s[22:23], -v[12:13]
	v_add_f64 v[172:173], v[14:15], v[30:31]
	v_mul_f64 v[14:15], v[108:109], s[20:21]
	v_fmac_f64_e32 v[12:13], s[22:23], v[8:9]
	v_add_f64 v[156:157], v[12:13], v[28:29]
	v_fma_f64 v[12:13], v[10:11], s[22:23], -v[14:15]
	v_add_f64 v[158:159], v[12:13], v[32:33]
	v_mul_f64 v[12:13], v[110:111], s[40:41]
	v_add_f64 v[166:167], v[16:17], v[26:27]
	v_fma_f64 v[16:17], s[22:23], v[10:11], v[14:15]
	v_fma_f64 v[14:15], v[8:9], s[8:9], -v[12:13]
	v_add_f64 v[176:177], v[14:15], v[38:39]
	v_mul_f64 v[14:15], v[108:109], s[40:41]
	v_fmac_f64_e32 v[12:13], s[8:9], v[8:9]
	v_add_f64 v[168:169], v[12:13], v[36:37]
	v_fma_f64 v[12:13], v[10:11], s[8:9], -v[14:15]
	v_add_f64 v[170:171], v[12:13], v[40:41]
	v_mul_f64 v[12:13], v[110:111], s[16:17]
	v_add_f64 v[174:175], v[16:17], v[34:35]
	v_fma_f64 v[16:17], s[8:9], v[10:11], v[14:15]
	v_fma_f64 v[14:15], v[8:9], s[18:19], -v[12:13]
	v_add_f64 v[144:145], v[144:145], v[152:153]
	v_add_f64 v[184:185], v[14:15], v[46:47]
	v_mul_f64 v[14:15], v[108:109], s[16:17]
	v_fmac_f64_e32 v[12:13], s[18:19], v[8:9]
	v_add_f64 v[136:137], v[136:137], v[144:145]
	v_add_f64 v[180:181], v[12:13], v[44:45]
	v_fma_f64 v[12:13], v[10:11], s[18:19], -v[14:15]
	v_add_f64 v[128:129], v[128:129], v[136:137]
	v_add_f64 v[182:183], v[12:13], v[48:49]
	v_mul_f64 v[12:13], v[110:111], s[30:31]
	v_add_f64 v[120:121], v[120:121], v[128:129]
	v_add_f64 v[178:179], v[16:17], v[42:43]
	v_fma_f64 v[16:17], s[18:19], v[10:11], v[14:15]
	v_fma_f64 v[14:15], v[8:9], s[0:1], -v[12:13]
	v_add_f64 v[4:5], v[114:115], v[4:5]
	v_add_f64 v[188:189], v[14:15], v[120:121]
	v_mul_f64 v[14:15], v[108:109], s[30:31]
	v_fmac_f64_e32 v[12:13], s[0:1], v[8:9]
	v_add_f64 v[192:193], v[12:13], v[4:5]
	v_fma_f64 v[4:5], v[10:11], s[0:1], -v[14:15]
	v_add_f64 v[194:195], v[4:5], v[6:7]
	v_add_f64 v[6:7], v[86:87], v[98:99]
	;; [unrolled: 1-line block ×25, first 2 shown]
	v_fma_f64 v[16:17], s[0:1], v[10:11], v[14:15]
	v_add_f64 v[4:5], v[4:5], v[92:93]
	v_add_f64 v[6:7], v[6:7], v[102:103]
	v_add_f64 v[8:9], v[96:97], -v[116:117]
	v_add_f64 v[190:191], v[16:17], v[122:123]
	v_add_f64 v[4:5], v[4:5], v[100:101]
	;; [unrolled: 1-line block ×4, first 2 shown]
	v_add_f64 v[10:11], v[98:99], -v[118:119]
	v_mul_f64 v[16:17], v[8:9], s[42:43]
	v_mul_f64 v[24:25], v[8:9], s[24:25]
	;; [unrolled: 1-line block ×6, first 2 shown]
	v_add_f64 v[112:113], v[4:5], v[116:117]
	v_add_f64 v[4:5], v[96:97], v[116:117]
	v_mul_f64 v[12:13], v[10:11], s[42:43]
	v_fma_f64 v[18:19], s[14:15], v[6:7], v[16:17]
	v_fma_f64 v[16:17], v[6:7], s[14:15], -v[16:17]
	v_mul_f64 v[20:21], v[10:11], s[24:25]
	v_fma_f64 v[26:27], s[8:9], v[6:7], v[24:25]
	v_fma_f64 v[24:25], v[6:7], s[8:9], -v[24:25]
	;; [unrolled: 3-line block ×6, first 2 shown]
	v_fma_f64 v[14:15], v[4:5], s[14:15], -v[12:13]
	v_add_f64 v[18:19], v[86:87], v[18:19]
	v_fmac_f64_e32 v[12:13], s[14:15], v[4:5]
	v_add_f64 v[16:17], v[86:87], v[16:17]
	v_fma_f64 v[22:23], v[4:5], s[8:9], -v[20:21]
	v_add_f64 v[26:27], v[86:87], v[26:27]
	v_fmac_f64_e32 v[20:21], s[8:9], v[4:5]
	v_add_f64 v[24:25], v[86:87], v[24:25]
	;; [unrolled: 4-line block ×6, first 2 shown]
	v_add_f64 v[86:87], v[90:91], -v[102:103]
	v_add_f64 v[14:15], v[84:85], v[14:15]
	v_add_f64 v[12:13], v[84:85], v[12:13]
	;; [unrolled: 1-line block ×13, first 2 shown]
	v_add_f64 v[84:85], v[88:89], -v[100:101]
	v_mul_f64 v[88:89], v[86:87], s[24:25]
	v_add_f64 v[10:11], v[90:91], v[102:103]
	v_fma_f64 v[90:91], v[8:9], s[8:9], -v[88:89]
	v_add_f64 v[14:15], v[90:91], v[14:15]
	v_mul_f64 v[90:91], v[84:85], s[24:25]
	v_fmac_f64_e32 v[88:89], s[8:9], v[8:9]
	v_add_f64 v[12:13], v[88:89], v[12:13]
	v_fma_f64 v[88:89], v[10:11], s[8:9], -v[90:91]
	v_add_f64 v[16:17], v[88:89], v[16:17]
	v_mul_f64 v[88:89], v[86:87], s[16:17]
	v_fma_f64 v[100:101], s[8:9], v[10:11], v[90:91]
	v_fma_f64 v[90:91], v[8:9], s[18:19], -v[88:89]
	v_add_f64 v[22:23], v[90:91], v[22:23]
	v_mul_f64 v[90:91], v[84:85], s[16:17]
	v_fmac_f64_e32 v[88:89], s[18:19], v[8:9]
	v_add_f64 v[20:21], v[88:89], v[20:21]
	v_fma_f64 v[88:89], v[10:11], s[18:19], -v[90:91]
	v_add_f64 v[24:25], v[88:89], v[24:25]
	v_mul_f64 v[88:89], v[86:87], s[26:27]
	v_add_f64 v[18:19], v[100:101], v[18:19]
	v_fma_f64 v[100:101], s[18:19], v[10:11], v[90:91]
	v_fma_f64 v[90:91], v[8:9], s[28:29], -v[88:89]
	v_add_f64 v[30:31], v[90:91], v[30:31]
	v_mul_f64 v[90:91], v[84:85], s[26:27]
	v_fmac_f64_e32 v[88:89], s[28:29], v[8:9]
	v_add_f64 v[28:29], v[88:89], v[28:29]
	v_fma_f64 v[88:89], v[10:11], s[28:29], -v[90:91]
	v_add_f64 v[32:33], v[88:89], v[32:33]
	v_mul_f64 v[88:89], v[86:87], s[38:39]
	v_add_f64 v[26:27], v[100:101], v[26:27]
	;; [unrolled: 10-line block ×3, first 2 shown]
	v_fma_f64 v[100:101], s[22:23], v[10:11], v[90:91]
	v_fma_f64 v[90:91], v[8:9], s[0:1], -v[88:89]
	v_add_f64 v[46:47], v[90:91], v[46:47]
	v_mul_f64 v[90:91], v[84:85], s[30:31]
	v_fmac_f64_e32 v[88:89], s[0:1], v[8:9]
	v_add_f64 v[44:45], v[88:89], v[44:45]
	v_fma_f64 v[88:89], v[10:11], s[0:1], -v[90:91]
	v_mul_f64 v[86:87], v[86:87], s[36:37]
	v_mul_f64 v[84:85], v[84:85], s[36:37]
	v_add_f64 v[42:43], v[100:101], v[42:43]
	v_fma_f64 v[100:101], s[0:1], v[10:11], v[90:91]
	v_add_f64 v[48:49], v[88:89], v[48:49]
	v_fma_f64 v[88:89], v[8:9], s[14:15], -v[86:87]
	v_fma_f64 v[90:91], s[14:15], v[10:11], v[84:85]
	v_fmac_f64_e32 v[86:87], s[14:15], v[8:9]
	v_fma_f64 v[8:9], v[10:11], s[14:15], -v[84:85]
	v_add_f64 v[10:11], v[74:75], v[94:95]
	v_add_f64 v[74:75], v[74:75], -v[94:95]
	v_add_f64 v[6:7], v[8:9], v[6:7]
	v_add_f64 v[8:9], v[72:73], v[92:93]
	v_mul_f64 v[84:85], v[74:75], s[34:35]
	v_add_f64 v[4:5], v[86:87], v[4:5]
	v_add_f64 v[72:73], v[72:73], -v[92:93]
	v_fma_f64 v[86:87], v[8:9], s[0:1], -v[84:85]
	v_add_f64 v[14:15], v[86:87], v[14:15]
	v_mul_f64 v[86:87], v[72:73], s[34:35]
	v_fmac_f64_e32 v[84:85], s[0:1], v[8:9]
	v_add_f64 v[12:13], v[84:85], v[12:13]
	v_fma_f64 v[84:85], v[10:11], s[0:1], -v[86:87]
	v_add_f64 v[16:17], v[84:85], v[16:17]
	v_mul_f64 v[84:85], v[74:75], s[26:27]
	v_fma_f64 v[92:93], s[0:1], v[10:11], v[86:87]
	v_fma_f64 v[86:87], v[8:9], s[28:29], -v[84:85]
	v_add_f64 v[22:23], v[86:87], v[22:23]
	v_mul_f64 v[86:87], v[72:73], s[26:27]
	v_fmac_f64_e32 v[84:85], s[28:29], v[8:9]
	v_add_f64 v[20:21], v[84:85], v[20:21]
	v_fma_f64 v[84:85], v[10:11], s[28:29], -v[86:87]
	v_add_f64 v[24:25], v[84:85], v[24:25]
	v_mul_f64 v[84:85], v[74:75], s[46:47]
	v_add_f64 v[18:19], v[92:93], v[18:19]
	v_fma_f64 v[92:93], s[28:29], v[10:11], v[86:87]
	v_fma_f64 v[86:87], v[8:9], s[18:19], -v[84:85]
	v_add_f64 v[30:31], v[86:87], v[30:31]
	v_mul_f64 v[86:87], v[72:73], s[46:47]
	v_fmac_f64_e32 v[84:85], s[18:19], v[8:9]
	v_add_f64 v[28:29], v[84:85], v[28:29]
	v_fma_f64 v[84:85], v[10:11], s[18:19], -v[86:87]
	v_add_f64 v[32:33], v[84:85], v[32:33]
	v_mul_f64 v[84:85], v[74:75], s[36:37]
	v_add_f64 v[26:27], v[92:93], v[26:27]
	;; [unrolled: 10-line block ×3, first 2 shown]
	v_fma_f64 v[92:93], s[14:15], v[10:11], v[86:87]
	v_fma_f64 v[86:87], v[8:9], s[8:9], -v[84:85]
	v_add_f64 v[46:47], v[86:87], v[46:47]
	v_mul_f64 v[86:87], v[72:73], s[24:25]
	v_fmac_f64_e32 v[84:85], s[8:9], v[8:9]
	v_add_f64 v[44:45], v[84:85], v[44:45]
	v_fma_f64 v[84:85], v[10:11], s[8:9], -v[86:87]
	v_mul_f64 v[74:75], v[74:75], s[20:21]
	v_mul_f64 v[72:73], v[72:73], s[20:21]
	v_add_f64 v[42:43], v[92:93], v[42:43]
	v_fma_f64 v[92:93], s[8:9], v[10:11], v[86:87]
	v_add_f64 v[48:49], v[84:85], v[48:49]
	v_fma_f64 v[84:85], v[8:9], s[22:23], -v[74:75]
	v_fma_f64 v[86:87], s[22:23], v[10:11], v[72:73]
	v_fmac_f64_e32 v[74:75], s[22:23], v[8:9]
	v_fma_f64 v[8:9], v[10:11], s[22:23], -v[72:73]
	v_add_f64 v[10:11], v[70:71], v[78:79]
	v_add_f64 v[70:71], v[70:71], -v[78:79]
	v_add_f64 v[6:7], v[8:9], v[6:7]
	v_add_f64 v[8:9], v[68:69], v[76:77]
	v_mul_f64 v[72:73], v[70:71], s[16:17]
	v_add_f64 v[4:5], v[74:75], v[4:5]
	v_add_f64 v[68:69], v[68:69], -v[76:77]
	v_fma_f64 v[74:75], v[8:9], s[18:19], -v[72:73]
	v_add_f64 v[14:15], v[74:75], v[14:15]
	v_mul_f64 v[74:75], v[68:69], s[16:17]
	v_fmac_f64_e32 v[72:73], s[18:19], v[8:9]
	v_add_f64 v[12:13], v[72:73], v[12:13]
	v_fma_f64 v[72:73], v[10:11], s[18:19], -v[74:75]
	v_add_f64 v[16:17], v[72:73], v[16:17]
	v_mul_f64 v[72:73], v[70:71], s[38:39]
	v_fma_f64 v[76:77], s[18:19], v[10:11], v[74:75]
	v_fma_f64 v[74:75], v[8:9], s[22:23], -v[72:73]
	v_add_f64 v[22:23], v[74:75], v[22:23]
	v_mul_f64 v[74:75], v[68:69], s[38:39]
	v_fmac_f64_e32 v[72:73], s[22:23], v[8:9]
	v_add_f64 v[20:21], v[72:73], v[20:21]
	v_fma_f64 v[72:73], v[10:11], s[22:23], -v[74:75]
	v_add_f64 v[24:25], v[72:73], v[24:25]
	v_mul_f64 v[72:73], v[70:71], s[36:37]
	v_add_f64 v[18:19], v[76:77], v[18:19]
	v_fma_f64 v[76:77], s[22:23], v[10:11], v[74:75]
	v_fma_f64 v[74:75], v[8:9], s[14:15], -v[72:73]
	v_add_f64 v[30:31], v[74:75], v[30:31]
	v_mul_f64 v[74:75], v[68:69], s[36:37]
	v_fmac_f64_e32 v[72:73], s[14:15], v[8:9]
	v_add_f64 v[28:29], v[72:73], v[28:29]
	v_fma_f64 v[72:73], v[10:11], s[14:15], -v[74:75]
	v_add_f64 v[32:33], v[72:73], v[32:33]
	v_mul_f64 v[72:73], v[70:71], s[34:35]
	v_add_f64 v[26:27], v[76:77], v[26:27]
	;; [unrolled: 10-line block ×3, first 2 shown]
	v_fma_f64 v[76:77], s[0:1], v[10:11], v[74:75]
	v_fma_f64 v[74:75], v[8:9], s[28:29], -v[72:73]
	v_add_f64 v[46:47], v[74:75], v[46:47]
	v_mul_f64 v[74:75], v[68:69], s[44:45]
	v_fmac_f64_e32 v[72:73], s[28:29], v[8:9]
	v_add_f64 v[44:45], v[72:73], v[44:45]
	v_fma_f64 v[72:73], v[10:11], s[28:29], -v[74:75]
	v_mul_f64 v[70:71], v[70:71], s[40:41]
	v_mul_f64 v[68:69], v[68:69], s[40:41]
	v_add_f64 v[42:43], v[76:77], v[42:43]
	v_fma_f64 v[76:77], s[28:29], v[10:11], v[74:75]
	v_add_f64 v[48:49], v[72:73], v[48:49]
	v_fma_f64 v[72:73], v[8:9], s[8:9], -v[70:71]
	v_fma_f64 v[74:75], s[8:9], v[10:11], v[68:69]
	v_fmac_f64_e32 v[70:71], s[8:9], v[8:9]
	v_fma_f64 v[8:9], v[10:11], s[8:9], -v[68:69]
	v_add_f64 v[10:11], v[62:63], v[66:67]
	v_add_f64 v[62:63], v[62:63], -v[66:67]
	v_add_f64 v[6:7], v[8:9], v[6:7]
	v_add_f64 v[8:9], v[60:61], v[64:65]
	v_add_f64 v[60:61], v[60:61], -v[64:65]
	v_mul_f64 v[64:65], v[62:63], s[20:21]
	v_fma_f64 v[66:67], v[8:9], s[22:23], -v[64:65]
	v_add_f64 v[14:15], v[66:67], v[14:15]
	v_mul_f64 v[66:67], v[60:61], s[20:21]
	v_fmac_f64_e32 v[64:65], s[22:23], v[8:9]
	v_add_f64 v[12:13], v[64:65], v[12:13]
	v_fma_f64 v[64:65], v[10:11], s[22:23], -v[66:67]
	v_add_f64 v[16:17], v[64:65], v[16:17]
	v_mul_f64 v[64:65], v[62:63], s[30:31]
	v_fma_f64 v[68:69], s[22:23], v[10:11], v[66:67]
	v_fma_f64 v[66:67], v[8:9], s[0:1], -v[64:65]
	v_add_f64 v[22:23], v[66:67], v[22:23]
	v_mul_f64 v[66:67], v[60:61], s[30:31]
	v_fmac_f64_e32 v[64:65], s[0:1], v[8:9]
	v_add_f64 v[20:21], v[64:65], v[20:21]
	v_fma_f64 v[64:65], v[10:11], s[0:1], -v[66:67]
	v_add_f64 v[24:25], v[64:65], v[24:25]
	v_mul_f64 v[64:65], v[62:63], s[24:25]
	v_add_f64 v[18:19], v[68:69], v[18:19]
	v_fma_f64 v[68:69], s[0:1], v[10:11], v[66:67]
	v_fma_f64 v[66:67], v[8:9], s[8:9], -v[64:65]
	v_add_f64 v[30:31], v[66:67], v[30:31]
	v_mul_f64 v[66:67], v[60:61], s[24:25]
	v_fmac_f64_e32 v[64:65], s[8:9], v[8:9]
	v_add_f64 v[28:29], v[64:65], v[28:29]
	v_fma_f64 v[64:65], v[10:11], s[8:9], -v[66:67]
	v_add_f64 v[32:33], v[64:65], v[32:33]
	v_mul_f64 v[64:65], v[62:63], s[44:45]
	v_add_f64 v[26:27], v[68:69], v[26:27]
	;; [unrolled: 10-line block ×3, first 2 shown]
	v_fma_f64 v[68:69], s[28:29], v[10:11], v[66:67]
	v_fma_f64 v[66:67], v[8:9], s[14:15], -v[64:65]
	v_add_f64 v[46:47], v[66:67], v[46:47]
	v_mul_f64 v[66:67], v[60:61], s[36:37]
	v_fmac_f64_e32 v[64:65], s[14:15], v[8:9]
	v_add_f64 v[44:45], v[64:65], v[44:45]
	v_fma_f64 v[64:65], v[10:11], s[14:15], -v[66:67]
	v_mul_f64 v[62:63], v[62:63], s[16:17]
	v_mul_f64 v[60:61], v[60:61], s[16:17]
	v_add_f64 v[42:43], v[68:69], v[42:43]
	v_fma_f64 v[68:69], s[14:15], v[10:11], v[66:67]
	v_add_f64 v[48:49], v[64:65], v[48:49]
	v_fma_f64 v[64:65], v[8:9], s[18:19], -v[62:63]
	v_fma_f64 v[66:67], s[18:19], v[10:11], v[60:61]
	v_fmac_f64_e32 v[62:63], s[18:19], v[8:9]
	v_fma_f64 v[8:9], v[10:11], s[18:19], -v[60:61]
	v_add_f64 v[10:11], v[54:55], v[58:59]
	v_add_f64 v[54:55], v[54:55], -v[58:59]
	v_add_f64 v[6:7], v[8:9], v[6:7]
	v_add_f64 v[8:9], v[52:53], v[56:57]
	v_add_f64 v[52:53], v[52:53], -v[56:57]
	v_mul_f64 v[56:57], v[54:55], s[26:27]
	v_fma_f64 v[58:59], v[8:9], s[28:29], -v[56:57]
	v_add_f64 v[160:161], v[58:59], v[14:15]
	v_mul_f64 v[14:15], v[52:53], s[26:27]
	v_fmac_f64_e32 v[56:57], s[28:29], v[8:9]
	v_add_f64 v[152:153], v[56:57], v[12:13]
	v_fma_f64 v[12:13], v[10:11], s[28:29], -v[14:15]
	v_add_f64 v[154:155], v[12:13], v[16:17]
	v_mul_f64 v[12:13], v[54:55], s[36:37]
	v_add_f64 v[50:51], v[100:101], v[50:51]
	v_fma_f64 v[58:59], s[28:29], v[10:11], v[14:15]
	v_fma_f64 v[14:15], v[8:9], s[14:15], -v[12:13]
	v_add_f64 v[50:51], v[92:93], v[50:51]
	v_add_f64 v[92:93], v[14:15], v[22:23]
	v_mul_f64 v[14:15], v[52:53], s[36:37]
	v_fmac_f64_e32 v[12:13], s[14:15], v[8:9]
	v_add_f64 v[148:149], v[12:13], v[20:21]
	v_fma_f64 v[12:13], v[10:11], s[14:15], -v[14:15]
	v_add_f64 v[150:151], v[12:13], v[24:25]
	v_mul_f64 v[12:13], v[54:55], s[20:21]
	v_fma_f64 v[16:17], s[14:15], v[10:11], v[14:15]
	v_fma_f64 v[14:15], v[8:9], s[22:23], -v[12:13]
	v_add_f64 v[88:89], v[88:89], v[96:97]
	v_add_f64 v[96:97], v[14:15], v[30:31]
	v_mul_f64 v[14:15], v[52:53], s[20:21]
	v_fmac_f64_e32 v[12:13], s[22:23], v[8:9]
	v_add_f64 v[144:145], v[12:13], v[28:29]
	v_fma_f64 v[12:13], v[10:11], s[22:23], -v[14:15]
	v_add_f64 v[146:147], v[12:13], v[32:33]
	v_mul_f64 v[12:13], v[54:55], s[40:41]
	v_add_f64 v[94:95], v[16:17], v[26:27]
	v_fma_f64 v[16:17], s[22:23], v[10:11], v[14:15]
	v_fma_f64 v[14:15], v[8:9], s[8:9], -v[12:13]
	v_add_f64 v[100:101], v[14:15], v[38:39]
	v_mul_f64 v[14:15], v[52:53], s[40:41]
	v_fmac_f64_e32 v[12:13], s[8:9], v[8:9]
	v_add_f64 v[140:141], v[12:13], v[36:37]
	v_fma_f64 v[12:13], v[10:11], s[8:9], -v[14:15]
	v_add_f64 v[142:143], v[12:13], v[40:41]
	v_mul_f64 v[12:13], v[54:55], s[16:17]
	v_add_f64 v[90:91], v[90:91], v[98:99]
	v_add_f64 v[98:99], v[16:17], v[34:35]
	v_fma_f64 v[16:17], s[8:9], v[10:11], v[14:15]
	v_fma_f64 v[14:15], v[8:9], s[18:19], -v[12:13]
	v_add_f64 v[108:109], v[14:15], v[46:47]
	v_mul_f64 v[14:15], v[52:53], s[16:17]
	v_fmac_f64_e32 v[12:13], s[18:19], v[8:9]
	v_add_f64 v[84:85], v[84:85], v[88:89]
	v_add_f64 v[136:137], v[12:13], v[44:45]
	v_fma_f64 v[12:13], v[10:11], s[18:19], -v[14:15]
	v_accvgpr_read_b32 v2, a2
	v_add_f64 v[72:73], v[72:73], v[84:85]
	v_add_f64 v[138:139], v[12:13], v[48:49]
	v_mul_f64 v[12:13], v[54:55], s[30:31]
	v_accvgpr_read_b32 v3, a3
	v_add_f64 v[86:87], v[86:87], v[90:91]
	v_add_f64 v[50:51], v[76:77], v[50:51]
	;; [unrolled: 1-line block ×5, first 2 shown]
	v_fma_f64 v[16:17], s[18:19], v[10:11], v[14:15]
	v_fma_f64 v[14:15], v[8:9], s[0:1], -v[12:13]
	v_lshl_add_u64 v[0:1], v[2:3], 0, 39
	v_add_f64 v[74:75], v[74:75], v[86:87]
	v_add_f64 v[50:51], v[68:69], v[50:51]
	;; [unrolled: 1-line block ×4, first 2 shown]
	v_mov_b32_e32 v58, v2
	v_add_f64 v[120:121], v[14:15], v[64:65]
	v_mul_f64 v[14:15], v[52:53], s[30:31]
	v_fmac_f64_e32 v[12:13], s[0:1], v[8:9]
	v_add_f64 v[66:67], v[66:67], v[74:75]
	v_add_f64 v[110:111], v[16:17], v[50:51]
	v_fma_f64 v[16:17], s[0:1], v[10:11], v[14:15]
	v_add_f64 v[128:129], v[12:13], v[4:5]
	v_fma_f64 v[4:5], v[10:11], s[0:1], -v[14:15]
	v_mul_lo_u16_e32 v1, 13, v58
	v_accvgpr_read_b32 v56, a56
	v_add_f64 v[122:123], v[16:17], v[66:67]
	v_add_f64 v[130:131], v[4:5], v[6:7]
	v_lshl_add_u32 v3, v1, 4, v56
	v_mul_u32_u24_e32 v57, 13, v0
	s_waitcnt lgkmcnt(0)
	s_barrier
	ds_write_b128 v3, v[80:83]
	ds_write_b128 v3, v[132:135] offset:16
	ds_write_b128 v3, v[164:167] offset:32
	;; [unrolled: 1-line block ×12, first 2 shown]
	s_and_saveexec_b64 s[0:1], vcc
	s_cbranch_execz .LBB0_7
; %bb.6:
	v_lshl_add_u32 v1, v57, 4, v56
	ds_write_b128 v1, v[112:115]
	ds_write_b128 v1, v[160:163] offset:16
	ds_write_b128 v1, v[92:95] offset:32
	;; [unrolled: 1-line block ×12, first 2 shown]
.LBB0_7:
	s_or_b64 exec, exec, s[0:1]
	s_waitcnt lgkmcnt(0)
	s_barrier
	ds_read_b128 v[156:159], v255
	ds_read_b128 v[132:135], v255 offset:624
	ds_read_b128 v[72:75], v255 offset:2912
	;; [unrolled: 1-line block ×11, first 2 shown]
	v_cmp_gt_u16_e64 s[0:1], 26, v58
	s_and_saveexec_b64 s[8:9], s[0:1]
	s_cbranch_execz .LBB0_9
; %bb.8:
	ds_read_b128 v[104:107], v255 offset:2496
	ds_read_b128 v[112:115], v255 offset:5408
	;; [unrolled: 1-line block ×3, first 2 shown]
.LBB0_9:
	s_or_b64 exec, exec, s[8:9]
	s_movk_i32 s8, 0x4f
	v_mul_lo_u16_sdwa v1, v58, s8 dst_sel:DWORD dst_unused:UNUSED_PAD src0_sel:BYTE_0 src1_sel:DWORD
	v_lshrrev_b16_e32 v12, 10, v1
	v_mul_lo_u16_e32 v1, 13, v12
	v_sub_u16_e32 v13, v58, v1
	v_mov_b32_e32 v2, 5
	v_lshlrev_b32_sdwa v1, v2, v13 dst_sel:DWORD dst_unused:UNUSED_PAD src0_sel:DWORD src1_sel:BYTE_0
	global_load_dwordx4 v[6:9], v1, s[2:3] offset:16
	global_load_dwordx4 v[64:67], v1, s[2:3]
	v_mul_lo_u16_sdwa v1, v0, s8 dst_sel:DWORD dst_unused:UNUSED_PAD src0_sel:BYTE_0 src1_sel:DWORD
	v_lshrrev_b16_e32 v14, 10, v1
	v_mul_lo_u16_e32 v1, 13, v14
	v_sub_u16_e32 v0, v0, v1
	v_lshlrev_b32_sdwa v1, v2, v0 dst_sel:DWORD dst_unused:UNUSED_PAD src0_sel:DWORD src1_sel:BYTE_0
	s_mov_b32 s15, 0xbfebb67a
	s_waitcnt vmcnt(1) lgkmcnt(7)
	v_mul_f64 v[170:171], v[68:69], v[8:9]
	s_waitcnt vmcnt(0)
	v_mul_f64 v[4:5], v[74:75], v[66:67]
	v_fma_f64 v[164:165], v[72:73], v[64:65], -v[4:5]
	v_mul_f64 v[166:167], v[72:73], v[66:67]
	v_mul_f64 v[4:5], v[70:71], v[8:9]
	v_fmac_f64_e32 v[166:167], v[74:75], v[64:65]
	v_fma_f64 v[168:169], v[68:69], v[6:7], -v[4:5]
	v_fmac_f64_e32 v[170:171], v[70:71], v[6:7]
	global_load_dwordx4 v[68:71], v1, s[2:3] offset:16
	global_load_dwordx4 v[72:75], v1, s[2:3]
	v_add_u16_e32 v1, 0x4e, v58
	v_accvgpr_write_b32 a65, v9
	v_accvgpr_write_b32 a64, v8
	;; [unrolled: 1-line block ×4, first 2 shown]
	s_waitcnt vmcnt(1) lgkmcnt(6)
	v_mul_f64 v[178:179], v[76:77], v[70:71]
	s_waitcnt vmcnt(0)
	v_mul_f64 v[4:5], v[82:83], v[74:75]
	v_fma_f64 v[172:173], v[80:81], v[72:73], -v[4:5]
	v_mul_f64 v[4:5], v[78:79], v[70:71]
	v_fma_f64 v[176:177], v[76:77], v[68:69], -v[4:5]
	v_mul_lo_u16_sdwa v4, v1, s8 dst_sel:DWORD dst_unused:UNUSED_PAD src0_sel:BYTE_0 src1_sel:DWORD
	v_lshrrev_b16_e32 v15, 10, v4
	v_mul_lo_u16_e32 v4, 13, v15
	v_sub_u16_e32 v16, v1, v4
	v_mul_f64 v[174:175], v[80:81], v[74:75]
	v_lshlrev_b32_sdwa v1, v2, v16 dst_sel:DWORD dst_unused:UNUSED_PAD src0_sel:DWORD src1_sel:BYTE_0
	v_fmac_f64_e32 v[174:175], v[82:83], v[72:73]
	v_fmac_f64_e32 v[178:179], v[78:79], v[68:69]
	global_load_dwordx4 v[76:79], v1, s[2:3] offset:16
	global_load_dwordx4 v[80:83], v1, s[2:3]
	v_add_u16_e32 v1, 0x75, v58
	v_add_f64 v[24:25], v[174:175], v[178:179]
	v_add_f64 v[26:27], v[172:173], -v[176:177]
	s_waitcnt vmcnt(1) lgkmcnt(1)
	v_mul_f64 v[194:195], v[84:85], v[78:79]
	s_waitcnt vmcnt(0)
	v_mul_f64 v[4:5], v[90:91], v[82:83]
	v_fma_f64 v[188:189], v[88:89], v[80:81], -v[4:5]
	v_mul_f64 v[4:5], v[86:87], v[78:79]
	v_fma_f64 v[192:193], v[84:85], v[76:77], -v[4:5]
	v_mul_lo_u16_sdwa v4, v1, s8 dst_sel:DWORD dst_unused:UNUSED_PAD src0_sel:BYTE_0 src1_sel:DWORD
	v_lshrrev_b16_e32 v17, 10, v4
	v_mul_lo_u16_e32 v4, 13, v17
	v_sub_u16_e32 v28, v1, v4
	v_mul_f64 v[190:191], v[88:89], v[82:83]
	v_lshlrev_b32_sdwa v1, v2, v28 dst_sel:DWORD dst_unused:UNUSED_PAD src0_sel:DWORD src1_sel:BYTE_0
	v_fmac_f64_e32 v[190:191], v[90:91], v[80:81]
	v_fmac_f64_e32 v[194:195], v[86:87], v[76:77]
	global_load_dwordx4 v[84:87], v1, s[2:3] offset:16
	global_load_dwordx4 v[88:91], v1, s[2:3]
	v_add_u16_e32 v1, 0x9c, v58
	v_mul_lo_u16_sdwa v18, v1, s8 dst_sel:DWORD dst_unused:UNUSED_PAD src0_sel:BYTE_0 src1_sel:DWORD
	v_lshrrev_b16_e32 v29, 10, v18
	v_mul_lo_u16_e32 v18, 13, v29
	s_mov_b32 s8, 0xe8584caa
	s_mov_b32 s9, 0x3febb67a
	;; [unrolled: 1-line block ×3, first 2 shown]
	s_waitcnt vmcnt(1) lgkmcnt(0)
	v_mul_f64 v[8:9], v[54:55], v[86:87]
	v_fma_f64 v[8:9], v[52:53], v[84:85], -v[8:9]
	v_mul_f64 v[10:11], v[52:53], v[86:87]
	v_sub_u16_e32 v52, v1, v18
	s_waitcnt vmcnt(0)
	v_mul_f64 v[4:5], v[62:63], v[90:91]
	v_mul_f64 v[6:7], v[60:61], v[90:91]
	v_lshlrev_b32_sdwa v2, v2, v52 dst_sel:DWORD dst_unused:UNUSED_PAD src0_sel:DWORD src1_sel:BYTE_0
	v_fma_f64 v[4:5], v[60:61], v[88:89], -v[4:5]
	v_fmac_f64_e32 v[6:7], v[62:63], v[88:89]
	global_load_dwordx4 v[60:63], v2, s[2:3] offset:16
	global_load_dwordx4 v[20:23], v2, s[2:3]
	v_mul_u32_u24_e32 v2, 39, v12
	v_add_u32_sdwa v2, v2, v13 dst_sel:DWORD dst_unused:UNUSED_PAD src0_sel:DWORD src1_sel:BYTE_0
	v_fmac_f64_e32 v[10:11], v[54:55], v[84:85]
	v_lshl_add_u32 v53, v2, 4, v56
	v_mul_u32_u24_e32 v2, 39, v14
	v_add_u32_sdwa v0, v2, v0 dst_sel:DWORD dst_unused:UNUSED_PAD src0_sel:DWORD src1_sel:BYTE_0
	v_lshl_add_u32 v54, v0, 4, v56
	v_mul_u32_u24_e32 v0, 39, v15
	v_add_u32_sdwa v0, v0, v16 dst_sel:DWORD dst_unused:UNUSED_PAD src0_sel:DWORD src1_sel:BYTE_0
	;; [unrolled: 3-line block ×3, first 2 shown]
	v_mov_b32_e32 v1, 0
	v_lshl_add_u32 v59, v0, 4, v56
	v_mul_u32_u24_e32 v2, 39, v29
	s_barrier
	s_waitcnt vmcnt(1)
	v_mul_f64 v[186:187], v[160:161], v[62:63]
	s_waitcnt vmcnt(0)
	v_mul_f64 v[18:19], v[114:115], v[22:23]
	v_fma_f64 v[180:181], v[112:113], v[20:21], -v[18:19]
	v_mul_f64 v[18:19], v[162:163], v[62:63]
	v_fma_f64 v[182:183], v[160:161], v[60:61], -v[18:19]
	v_add_f64 v[18:19], v[156:157], v[164:165]
	v_mul_f64 v[184:185], v[112:113], v[22:23]
	v_add_f64 v[112:113], v[18:19], v[168:169]
	v_add_f64 v[18:19], v[164:165], v[168:169]
	v_fmac_f64_e32 v[156:157], -0.5, v[18:19]
	v_add_f64 v[18:19], v[166:167], -v[170:171]
	v_fma_f64 v[160:161], s[8:9], v[18:19], v[156:157]
	v_fmac_f64_e32 v[156:157], s[14:15], v[18:19]
	v_add_f64 v[18:19], v[158:159], v[166:167]
	v_accvgpr_write_b32 a69, v23
	v_fmac_f64_e32 v[184:185], v[114:115], v[20:21]
	v_add_f64 v[114:115], v[18:19], v[170:171]
	v_add_f64 v[18:19], v[166:167], v[170:171]
	v_accvgpr_write_b32 a68, v22
	v_accvgpr_write_b32 a67, v21
	v_accvgpr_write_b32 a66, v20
	v_fmac_f64_e32 v[158:159], -0.5, v[18:19]
	v_add_f64 v[18:19], v[164:165], -v[168:169]
	v_add_f64 v[20:21], v[172:173], v[176:177]
	v_fmac_f64_e32 v[186:187], v[162:163], v[60:61]
	v_fma_f64 v[162:163], s[14:15], v[18:19], v[158:159]
	v_fmac_f64_e32 v[158:159], s[8:9], v[18:19]
	v_add_f64 v[18:19], v[132:133], v[172:173]
	v_fmac_f64_e32 v[132:133], -0.5, v[20:21]
	v_add_f64 v[20:21], v[174:175], -v[178:179]
	v_fma_f64 v[22:23], s[8:9], v[20:21], v[132:133]
	v_fmac_f64_e32 v[132:133], s[14:15], v[20:21]
	v_add_f64 v[20:21], v[134:135], v[174:175]
	v_fmac_f64_e32 v[134:135], -0.5, v[24:25]
	v_fma_f64 v[24:25], s[14:15], v[26:27], v[134:135]
	v_fmac_f64_e32 v[134:135], s[8:9], v[26:27]
	v_add_f64 v[26:27], v[124:125], v[188:189]
	v_add_f64 v[164:165], v[26:27], v[192:193]
	v_add_f64 v[26:27], v[188:189], v[192:193]
	v_fmac_f64_e32 v[124:125], -0.5, v[26:27]
	v_add_f64 v[26:27], v[190:191], -v[194:195]
	v_fma_f64 v[168:169], s[8:9], v[26:27], v[124:125]
	v_fmac_f64_e32 v[124:125], s[14:15], v[26:27]
	v_add_f64 v[26:27], v[126:127], v[190:191]
	v_add_f64 v[166:167], v[26:27], v[194:195]
	v_add_f64 v[26:27], v[190:191], v[194:195]
	v_fmac_f64_e32 v[126:127], -0.5, v[26:27]
	v_add_f64 v[26:27], v[188:189], -v[192:193]
	;; [unrolled: 7-line block ×3, first 2 shown]
	v_add_f64 v[18:19], v[18:19], v[176:177]
	v_fma_f64 v[176:177], s[8:9], v[26:27], v[116:117]
	v_fmac_f64_e32 v[116:117], s[14:15], v[26:27]
	v_add_f64 v[26:27], v[118:119], v[6:7]
	v_add_f64 v[6:7], v[6:7], v[10:11]
	v_fmac_f64_e32 v[118:119], -0.5, v[6:7]
	v_add_f64 v[4:5], v[4:5], -v[8:9]
	v_add_f64 v[20:21], v[20:21], v[178:179]
	v_fma_f64 v[178:179], s[14:15], v[4:5], v[118:119]
	v_fmac_f64_e32 v[118:119], s[8:9], v[4:5]
	v_add_f64 v[4:5], v[180:181], v[182:183]
	v_add_f64 v[8:9], v[184:185], v[186:187]
	;; [unrolled: 1-line block ×3, first 2 shown]
	v_fma_f64 v[4:5], -0.5, v[4:5], v[104:105]
	v_add_f64 v[6:7], v[184:185], -v[186:187]
	v_fma_f64 v[8:9], -0.5, v[8:9], v[106:107]
	v_add_f64 v[10:11], v[180:181], -v[182:183]
	v_fma_f64 v[188:189], s[14:15], v[6:7], v[4:5]
	v_fma_f64 v[190:191], s[8:9], v[10:11], v[8:9]
	ds_write_b128 v53, v[112:115]
	ds_write_b128 v53, v[160:163] offset:208
	ds_write_b128 v53, v[156:159] offset:416
	ds_write_b128 v54, v[18:21]
	ds_write_b128 v54, v[22:25] offset:208
	ds_write_b128 v54, v[132:135] offset:416
	;; [unrolled: 3-line block ×4, first 2 shown]
	s_and_saveexec_b64 s[14:15], s[0:1]
	s_cbranch_execz .LBB0_11
; %bb.10:
	v_mul_f64 v[12:13], v[6:7], s[8:9]
	v_mul_f64 v[6:7], v[10:11], s[8:9]
	v_add_f64 v[6:7], v[8:9], -v[6:7]
	v_add_f64 v[8:9], v[106:107], v[184:185]
	v_add_f64 v[10:11], v[8:9], v[186:187]
	;; [unrolled: 1-line block ×3, first 2 shown]
	v_add_u32_sdwa v0, v2, v52 dst_sel:DWORD dst_unused:UNUSED_PAD src0_sel:DWORD src1_sel:BYTE_0
	v_add_f64 v[8:9], v[8:9], v[182:183]
	v_lshl_add_u32 v0, v0, 4, v56
	v_add_f64 v[4:5], v[12:13], v[4:5]
	ds_write_b128 v0, v[8:11]
	ds_write_b128 v0, v[4:7] offset:208
	ds_write_b128 v0, v[188:191] offset:416
.LBB0_11:
	s_or_b64 exec, exec, s[14:15]
	s_movk_i32 s8, 0x60
	v_mov_b64_e32 v[4:5], s[2:3]
	v_mad_u64_u32 v[224:225], s[2:3], v58, s8, v[4:5]
	s_waitcnt lgkmcnt(0)
	s_barrier
	ds_read_b128 v[164:167], v255
	ds_read_b128 v[6:9], v255 offset:1248
	ds_read_b128 v[10:13], v255 offset:2496
	;; [unrolled: 1-line block ×13, first 2 shown]
	global_load_dwordx4 v[104:107], v[224:225], off offset:464
	global_load_dwordx4 v[112:115], v[224:225], off offset:448
	;; [unrolled: 1-line block ×6, first 2 shown]
	v_lshlrev_b32_e32 v0, 4, v58
	v_lshl_add_u64 v[0:1], s[12:13], 0, v[0:1]
	s_mov_b32 s8, 0x37e14327
	s_mov_b32 s2, 0x36b3c0b5
	;; [unrolled: 1-line block ×20, first 2 shown]
	s_waitcnt lgkmcnt(0)
	s_barrier
	s_waitcnt vmcnt(4)
	v_mul_f64 v[36:37], v[182:183], v[114:115]
	s_waitcnt vmcnt(3)
	v_mul_f64 v[24:25], v[186:187], v[118:119]
	;; [unrolled: 2-line block ×3, first 2 shown]
	v_fma_f64 v[4:5], v[6:7], v[132:133], -v[4:5]
	v_mul_f64 v[6:7], v[6:7], v[134:135]
	v_fmac_f64_e32 v[6:7], v[8:9], v[132:133]
	v_mul_f64 v[8:9], v[12:13], v[118:119]
	v_fma_f64 v[8:9], v[10:11], v[116:117], -v[8:9]
	v_mul_f64 v[10:11], v[10:11], v[118:119]
	v_fmac_f64_e32 v[10:11], v[12:13], v[116:117]
	v_mul_f64 v[12:13], v[16:17], v[114:115]
	;; [unrolled: 4-line block ×3, first 2 shown]
	v_fma_f64 v[16:17], v[18:19], v[104:105], -v[16:17]
	v_mul_f64 v[18:19], v[18:19], v[106:107]
	v_fmac_f64_e32 v[18:19], v[20:21], v[104:105]
	s_waitcnt vmcnt(0)
	v_mul_f64 v[20:21], v[202:203], v[158:159]
	v_fma_f64 v[28:29], v[200:201], v[156:157], -v[20:21]
	v_mul_f64 v[20:21], v[198:199], v[126:127]
	v_mul_f64 v[30:31], v[200:201], v[158:159]
	v_fma_f64 v[32:33], v[196:197], v[124:125], -v[20:21]
	v_mul_f64 v[34:35], v[196:197], v[126:127]
	v_fmac_f64_e32 v[30:31], v[202:203], v[156:157]
	v_fmac_f64_e32 v[34:35], v[198:199], v[124:125]
	v_add_f64 v[42:43], v[4:5], v[32:33]
	v_add_f64 v[4:5], v[4:5], -v[32:33]
	v_add_f64 v[32:33], v[8:9], v[28:29]
	v_fma_f64 v[24:25], v[184:185], v[116:117], -v[24:25]
	v_mul_f64 v[26:27], v[184:185], v[118:119]
	v_fma_f64 v[184:185], v[180:181], v[112:113], -v[36:37]
	v_mul_f64 v[180:181], v[180:181], v[114:115]
	v_mul_f64 v[36:37], v[178:179], v[106:107]
	v_add_f64 v[44:45], v[6:7], v[34:35]
	v_add_f64 v[6:7], v[6:7], -v[34:35]
	v_add_f64 v[34:35], v[10:11], v[30:31]
	v_add_f64 v[8:9], v[8:9], -v[28:29]
	;; [unrolled: 2-line block ×3, first 2 shown]
	v_add_f64 v[16:17], v[32:33], v[42:43]
	v_fmac_f64_e32 v[180:181], v[182:183], v[112:113]
	v_fma_f64 v[182:183], v[176:177], v[104:105], -v[36:37]
	v_mul_f64 v[176:177], v[176:177], v[106:107]
	v_mul_f64 v[36:37], v[174:175], v[158:159]
	v_add_f64 v[10:11], v[10:11], -v[30:31]
	v_add_f64 v[30:31], v[14:15], v[18:19]
	v_add_f64 v[14:15], v[18:19], -v[14:15]
	v_add_f64 v[18:19], v[34:35], v[44:45]
	v_add_f64 v[16:17], v[28:29], v[16:17]
	v_fmac_f64_e32 v[176:177], v[178:179], v[104:105]
	v_fma_f64 v[178:179], v[172:173], v[156:157], -v[36:37]
	v_mul_f64 v[36:37], v[172:173], v[158:159]
	v_mul_f64 v[38:39], v[170:171], v[126:127]
	v_mul_f64 v[40:41], v[168:169], v[126:127]
	v_add_f64 v[18:19], v[30:31], v[18:19]
	v_add_f64 v[164:165], v[164:165], v[16:17]
	v_fmac_f64_e32 v[36:37], v[174:175], v[156:157]
	v_fma_f64 v[38:39], v[168:169], v[124:125], -v[38:39]
	v_fmac_f64_e32 v[40:41], v[170:171], v[124:125]
	v_add_f64 v[46:47], v[32:33], -v[42:43]
	v_add_f64 v[48:49], v[34:35], -v[44:45]
	;; [unrolled: 1-line block ×6, first 2 shown]
	v_add_f64 v[50:51], v[12:13], v[8:9]
	v_add_f64 v[168:169], v[14:15], v[10:11]
	v_add_f64 v[170:171], v[12:13], -v[8:9]
	v_add_f64 v[172:173], v[14:15], -v[10:11]
	;; [unrolled: 1-line block ×3, first 2 shown]
	v_add_f64 v[166:167], v[166:167], v[18:19]
	v_mov_b64_e32 v[174:175], v[164:165]
	v_add_f64 v[12:13], v[4:5], -v[12:13]
	v_add_f64 v[14:15], v[6:7], -v[14:15]
	;; [unrolled: 1-line block ×3, first 2 shown]
	v_add_f64 v[6:7], v[168:169], v[6:7]
	v_mul_f64 v[28:29], v[42:43], s[8:9]
	v_mul_f64 v[30:31], v[44:45], s[8:9]
	v_mul_f64 v[42:43], v[32:33], s[2:3]
	v_mul_f64 v[44:45], v[34:35], s[2:3]
	v_mul_f64 v[172:173], v[172:173], s[14:15]
	v_mul_f64 v[168:169], v[8:9], s[12:13]
	v_fmac_f64_e32 v[174:175], s[16:17], v[16:17]
	v_mov_b64_e32 v[16:17], v[166:167]
	v_mul_f64 v[20:21], v[194:195], v[134:135]
	v_add_f64 v[4:5], v[50:51], v[4:5]
	v_mul_f64 v[50:51], v[170:171], s[14:15]
	v_mul_f64 v[170:171], v[10:11], s[12:13]
	v_fmac_f64_e32 v[16:17], s[16:17], v[18:19]
	v_fma_f64 v[18:19], v[46:47], s[18:19], -v[42:43]
	v_fma_f64 v[42:43], v[48:49], s[18:19], -v[44:45]
	;; [unrolled: 1-line block ×3, first 2 shown]
	v_fmac_f64_e32 v[28:29], s[2:3], v[32:33]
	v_fma_f64 v[32:33], v[48:49], s[20:21], -v[30:31]
	v_fma_f64 v[46:47], v[10:11], s[12:13], -v[172:173]
	v_fmac_f64_e32 v[172:173], s[22:23], v[14:15]
	v_fma_f64 v[48:49], v[12:13], s[26:27], -v[168:169]
	v_fma_f64 v[20:21], v[192:193], v[132:133], -v[20:21]
	v_mul_f64 v[22:23], v[192:193], v[134:135]
	v_fmac_f64_e32 v[30:31], s[2:3], v[34:35]
	v_fma_f64 v[34:35], v[8:9], s[12:13], -v[50:51]
	v_fmac_f64_e32 v[50:51], s[22:23], v[12:13]
	v_fma_f64 v[168:169], v[14:15], s[26:27], -v[170:171]
	v_add_f64 v[28:29], v[28:29], v[174:175]
	v_add_f64 v[32:33], v[32:33], v[16:17]
	v_fmac_f64_e32 v[172:173], s[24:25], v[6:7]
	v_fmac_f64_e32 v[48:49], s[24:25], v[4:5]
	;; [unrolled: 1-line block ×4, first 2 shown]
	v_add_f64 v[30:31], v[30:31], v[16:17]
	v_add_f64 v[18:19], v[18:19], v[174:175]
	;; [unrolled: 1-line block ×4, first 2 shown]
	v_fmac_f64_e32 v[50:51], s[24:25], v[4:5]
	v_fmac_f64_e32 v[34:35], s[24:25], v[4:5]
	v_fmac_f64_e32 v[46:47], s[24:25], v[6:7]
	v_fmac_f64_e32 v[168:169], s[24:25], v[6:7]
	v_add_f64 v[4:5], v[172:173], v[28:29]
	v_add_f64 v[10:11], v[32:33], -v[48:49]
	v_add_f64 v[170:171], v[48:49], v[32:33]
	v_add_f64 v[172:173], v[28:29], -v[172:173]
	v_add_f64 v[28:29], v[20:21], v[38:39]
	v_add_f64 v[32:33], v[24:25], v[178:179]
	v_add_f64 v[6:7], v[30:31], -v[50:51]
	v_add_f64 v[8:9], v[168:169], v[44:45]
	v_add_f64 v[12:13], v[18:19], -v[46:47]
	v_add_f64 v[14:15], v[34:35], v[42:43]
	v_add_f64 v[16:17], v[46:47], v[18:19]
	v_add_f64 v[18:19], v[42:43], -v[34:35]
	v_add_f64 v[168:169], v[44:45], -v[168:169]
	v_add_f64 v[174:175], v[50:51], v[30:31]
	v_add_f64 v[30:31], v[22:23], v[40:41]
	v_add_f64 v[22:23], v[22:23], -v[40:41]
	v_add_f64 v[34:35], v[26:27], v[36:37]
	v_add_f64 v[24:25], v[24:25], -v[178:179]
	v_add_f64 v[26:27], v[26:27], -v[36:37]
	v_add_f64 v[36:37], v[184:185], v[182:183]
	v_add_f64 v[40:41], v[182:183], -v[184:185]
	v_add_f64 v[44:45], v[32:33], v[28:29]
	;; [unrolled: 2-line block ×4, first 2 shown]
	v_add_f64 v[48:49], v[32:33], -v[28:29]
	v_add_f64 v[28:29], v[28:29], -v[36:37]
	;; [unrolled: 1-line block ×3, first 2 shown]
	v_add_f64 v[176:177], v[40:41], v[24:25]
	v_add_f64 v[36:37], v[36:37], v[44:45]
	v_add_f64 v[50:51], v[34:35], -v[30:31]
	v_add_f64 v[30:31], v[30:31], -v[38:39]
	v_add_f64 v[34:35], v[38:39], -v[34:35]
	v_add_f64 v[178:179], v[42:43], v[26:27]
	v_add_f64 v[180:181], v[40:41], -v[24:25]
	v_add_f64 v[182:183], v[42:43], -v[26:27]
	;; [unrolled: 1-line block ×4, first 2 shown]
	v_add_f64 v[38:39], v[38:39], v[46:47]
	v_add_f64 v[44:45], v[176:177], v[20:21]
	;; [unrolled: 1-line block ×3, first 2 shown]
	v_add_f64 v[42:43], v[22:23], -v[42:43]
	v_add_f64 v[26:27], v[26:27], -v[22:23]
	v_add_f64 v[46:47], v[178:179], v[22:23]
	v_add_f64 v[22:23], v[162:163], v[38:39]
	v_mul_f64 v[192:193], v[182:183], s[14:15]
	v_mov_b64_e32 v[182:183], v[20:21]
	v_mul_f64 v[28:29], v[28:29], s[8:9]
	v_mul_f64 v[30:31], v[30:31], s[8:9]
	;; [unrolled: 1-line block ×7, first 2 shown]
	v_fmac_f64_e32 v[182:183], s[16:17], v[36:37]
	v_mov_b64_e32 v[36:37], v[22:23]
	v_fmac_f64_e32 v[36:37], s[16:17], v[38:39]
	v_fma_f64 v[32:33], s[2:3], v[32:33], v[28:29]
	v_fma_f64 v[38:39], v[48:49], s[18:19], -v[160:161]
	v_fma_f64 v[160:161], v[50:51], s[18:19], -v[162:163]
	;; [unrolled: 1-line block ×4, first 2 shown]
	v_fmac_f64_e32 v[30:31], s[2:3], v[34:35]
	v_fma_f64 v[34:35], s[22:23], v[40:41], v[176:177]
	v_fma_f64 v[50:51], v[24:25], s[12:13], -v[176:177]
	v_fma_f64 v[184:185], v[26:27], s[12:13], -v[192:193]
	v_fmac_f64_e32 v[192:193], s[22:23], v[42:43]
	v_fma_f64 v[40:41], v[40:41], s[26:27], -v[178:179]
	v_fma_f64 v[42:43], v[42:43], s[26:27], -v[180:181]
	v_add_f64 v[32:33], v[32:33], v[182:183]
	v_add_f64 v[30:31], v[30:31], v[36:37]
	;; [unrolled: 1-line block ×6, first 2 shown]
	v_fmac_f64_e32 v[34:35], s[24:25], v[44:45]
	v_fmac_f64_e32 v[192:193], s[24:25], v[46:47]
	;; [unrolled: 1-line block ×6, first 2 shown]
	v_add_f64 v[24:25], v[192:193], v[32:33]
	v_add_f64 v[26:27], v[30:31], -v[34:35]
	v_add_f64 v[160:161], v[42:43], v[28:29]
	v_add_f64 v[162:163], v[36:37], -v[40:41]
	v_add_f64 v[176:177], v[38:39], -v[184:185]
	v_add_f64 v[178:179], v[50:51], v[186:187]
	v_add_f64 v[180:181], v[184:185], v[38:39]
	v_add_f64 v[182:183], v[186:187], -v[50:51]
	v_add_f64 v[184:185], v[28:29], -v[42:43]
	v_add_f64 v[186:187], v[40:41], v[36:37]
	v_add_f64 v[192:193], v[32:33], -v[192:193]
	v_add_f64 v[194:195], v[34:35], v[30:31]
	ds_write_b128 v255, v[164:167]
	ds_write_b128 v255, v[4:7] offset:624
	ds_write_b128 v255, v[8:11] offset:1248
	;; [unrolled: 1-line block ×13, first 2 shown]
	v_mul_hi_i32_i24_e32 v5, 0xffffffb0, v58
	v_mul_i32_i24_e32 v4, 0xffffffb0, v58
	v_lshl_add_u64 v[4:5], v[224:225], 0, v[4:5]
	s_movk_i32 s12, 0x1000
	v_add_co_u32_e64 v24, s[2:3], s12, v4
	s_waitcnt lgkmcnt(0)
	s_nop 0
	v_addc_co_u32_e64 v25, s[2:3], 0, v5, s[2:3]
	s_barrier
	ds_read_b128 v[216:219], v255
	ds_read_b128 v[8:11], v255 offset:4368
	ds_read_b128 v[212:215], v255 offset:624
	;; [unrolled: 1-line block ×13, first 2 shown]
	global_load_dwordx4 v[160:163], v[24:25], off offset:64
	global_load_dwordx4 v[164:167], v[24:25], off offset:688
	;; [unrolled: 1-line block ×5, first 2 shown]
	s_mov_b64 s[2:3], 0x2220
	s_movk_i32 s13, 0x2000
	s_waitcnt vmcnt(4) lgkmcnt(12)
	v_mul_f64 v[4:5], v[10:11], v[162:163]
	v_fma_f64 v[6:7], v[8:9], v[160:161], -v[4:5]
	v_mul_f64 v[4:5], v[8:9], v[162:163]
	s_waitcnt vmcnt(3) lgkmcnt(10)
	v_mul_f64 v[8:9], v[14:15], v[166:167]
	v_fmac_f64_e32 v[4:5], v[10:11], v[160:161]
	v_fma_f64 v[10:11], v[12:13], v[164:165], -v[8:9]
	v_mul_f64 v[8:9], v[12:13], v[166:167]
	s_waitcnt vmcnt(2) lgkmcnt(8)
	v_mul_f64 v[12:13], v[18:19], v[170:171]
	v_fmac_f64_e32 v[8:9], v[14:15], v[164:165]
	v_fma_f64 v[14:15], v[16:17], v[168:169], -v[12:13]
	v_mul_f64 v[12:13], v[16:17], v[170:171]
	s_waitcnt vmcnt(1) lgkmcnt(6)
	v_mul_f64 v[16:17], v[22:23], v[174:175]
	v_fma_f64 v[26:27], v[20:21], v[172:173], -v[16:17]
	s_waitcnt vmcnt(0) lgkmcnt(4)
	v_mul_f64 v[16:17], v[182:183], v[178:179]
	v_mul_f64 v[32:33], v[180:181], v[178:179]
	v_fma_f64 v[30:31], v[180:181], v[176:177], -v[16:17]
	v_fmac_f64_e32 v[32:33], v[182:183], v[176:177]
	global_load_dwordx4 v[180:183], v[24:25], off offset:3184
	v_mul_f64 v[28:29], v[20:21], v[174:175]
	v_fmac_f64_e32 v[12:13], v[18:19], v[168:169]
	v_fmac_f64_e32 v[28:29], v[22:23], v[172:173]
	v_add_f64 v[20:21], v[212:213], -v[10:11]
	v_add_f64 v[22:23], v[214:215], -v[8:9]
	v_add_f64 v[18:19], v[218:219], -v[4:5]
	v_fma_f64 v[8:9], v[212:213], 2.0, -v[20:21]
	v_fma_f64 v[10:11], v[214:215], 2.0, -v[22:23]
	v_add_f64 v[212:213], v[208:209], -v[14:15]
	v_add_f64 v[214:215], v[210:211], -v[12:13]
	v_fma_f64 v[12:13], v[208:209], 2.0, -v[212:213]
	v_fma_f64 v[14:15], v[210:211], 2.0, -v[214:215]
	v_add_f64 v[208:209], v[204:205], -v[26:27]
	v_add_f64 v[210:211], v[206:207], -v[28:29]
	v_lshl_add_u32 v26, v58, 4, v56
	v_fma_f64 v[204:205], v[204:205], 2.0, -v[208:209]
	v_fma_f64 v[206:207], v[206:207], 2.0, -v[210:211]
	s_waitcnt vmcnt(0) lgkmcnt(2)
	v_mul_f64 v[16:17], v[186:187], v[182:183]
	v_mul_f64 v[36:37], v[184:185], v[182:183]
	v_fma_f64 v[34:35], v[184:185], v[180:181], -v[16:17]
	v_fmac_f64_e32 v[36:37], v[186:187], v[180:181]
	global_load_dwordx4 v[184:187], v[24:25], off offset:3808
	s_waitcnt vmcnt(0) lgkmcnt(0)
	v_mul_f64 v[16:17], v[222:223], v[186:187]
	v_fma_f64 v[24:25], v[220:221], v[184:185], -v[16:17]
	v_mul_f64 v[38:39], v[220:221], v[186:187]
	v_add_f64 v[16:17], v[216:217], -v[6:7]
	v_fmac_f64_e32 v[38:39], v[222:223], v[184:185]
	v_fma_f64 v[4:5], v[216:217], 2.0, -v[16:17]
	v_add_f64 v[216:217], v[200:201], -v[30:31]
	v_add_f64 v[220:221], v[192:193], -v[34:35]
	;; [unrolled: 1-line block ×3, first 2 shown]
	v_fma_f64 v[6:7], v[218:219], 2.0, -v[18:19]
	v_add_f64 v[218:219], v[202:203], -v[32:33]
	v_fma_f64 v[200:201], v[200:201], 2.0, -v[216:217]
	v_fma_f64 v[224:225], v[192:193], 2.0, -v[220:221]
	;; [unrolled: 1-line block ×3, first 2 shown]
	v_add_f64 v[192:193], v[196:197], -v[24:25]
	v_add_f64 v[194:195], v[198:199], -v[38:39]
	v_fma_f64 v[202:203], v[202:203], 2.0, -v[218:219]
	v_fma_f64 v[196:197], v[196:197], 2.0, -v[192:193]
	;; [unrolled: 1-line block ×3, first 2 shown]
	ds_write_b128 v255, v[4:7]
	ds_write_b128 v26, v[16:19] offset:4368
	ds_write_b128 v26, v[8:11] offset:624
	;; [unrolled: 1-line block ×13, first 2 shown]
	v_lshl_add_u64 v[200:201], v[0:1], 0, s[2:3]
	v_add_co_u32_e64 v8, s[2:3], s13, v0
	s_waitcnt lgkmcnt(0)
	s_nop 0
	v_addc_co_u32_e64 v9, s[2:3], 0, v1, s[2:3]
	s_barrier
	global_load_dwordx4 v[8:11], v[8:9], off offset:544
	ds_read_b128 v[4:7], v255
	ds_read_b128 v[196:199], v255 offset:8064
	s_movk_i32 s2, 0x3000
	v_add_co_u32_e64 v16, s[2:3], s2, v0
	s_waitcnt vmcnt(0) lgkmcnt(1)
	v_mul_f64 v[12:13], v[6:7], v[10:11]
	v_mul_f64 v[14:15], v[4:5], v[10:11]
	v_fma_f64 v[12:13], v[4:5], v[8:9], -v[12:13]
	v_fmac_f64_e32 v[14:15], v[6:7], v[8:9]
	global_load_dwordx4 v[8:11], v[200:201], off offset:672
	ds_read_b128 v[4:7], v255 offset:672
	ds_write_b128 v255, v[12:15]
	v_addc_co_u32_e64 v17, s[2:3], 0, v1, s[2:3]
	s_movk_i32 s2, 0x4000
	s_nop 0
	v_add_co_u32_e64 v0, s[2:3], s2, v0
	s_waitcnt vmcnt(0) lgkmcnt(1)
	v_mul_f64 v[12:13], v[6:7], v[10:11]
	v_mul_f64 v[14:15], v[4:5], v[10:11]
	v_fma_f64 v[12:13], v[4:5], v[8:9], -v[12:13]
	v_fmac_f64_e32 v[14:15], v[6:7], v[8:9]
	global_load_dwordx4 v[8:11], v[200:201], off offset:1344
	ds_read_b128 v[4:7], v255 offset:1344
	ds_write_b128 v255, v[12:15] offset:672
	v_addc_co_u32_e64 v1, s[2:3], 0, v1, s[2:3]
	s_waitcnt vmcnt(0) lgkmcnt(1)
	v_mul_f64 v[12:13], v[6:7], v[10:11]
	v_mul_f64 v[14:15], v[4:5], v[10:11]
	v_fma_f64 v[12:13], v[4:5], v[8:9], -v[12:13]
	v_fmac_f64_e32 v[14:15], v[6:7], v[8:9]
	global_load_dwordx4 v[8:11], v[200:201], off offset:2016
	ds_read_b128 v[4:7], v255 offset:2016
	ds_write_b128 v255, v[12:15] offset:1344
	s_waitcnt vmcnt(0) lgkmcnt(1)
	v_mul_f64 v[12:13], v[6:7], v[10:11]
	v_mul_f64 v[14:15], v[4:5], v[10:11]
	v_fma_f64 v[12:13], v[4:5], v[8:9], -v[12:13]
	v_fmac_f64_e32 v[14:15], v[6:7], v[8:9]
	global_load_dwordx4 v[8:11], v[200:201], off offset:2688
	ds_read_b128 v[4:7], v255 offset:2688
	ds_write_b128 v255, v[12:15] offset:2016
	;; [unrolled: 8-line block ×9, first 2 shown]
	s_waitcnt vmcnt(0) lgkmcnt(1)
	v_mul_f64 v[12:13], v[6:7], v[10:11]
	v_mul_f64 v[14:15], v[4:5], v[10:11]
	v_fma_f64 v[12:13], v[4:5], v[8:9], -v[12:13]
	v_fmac_f64_e32 v[14:15], v[6:7], v[8:9]
	global_load_dwordx4 v[4:7], v[0:1], off offset:416
	ds_write_b128 v255, v[12:15] offset:7392
	s_waitcnt vmcnt(0)
	v_mul_f64 v[0:1], v[198:199], v[6:7]
	v_mul_f64 v[10:11], v[196:197], v[6:7]
	v_fma_f64 v[8:9], v[196:197], v[4:5], -v[0:1]
	v_fmac_f64_e32 v[10:11], v[198:199], v[4:5]
	ds_write_b128 v255, v[8:11] offset:8064
	s_and_saveexec_b64 s[8:9], vcc
	s_cbranch_execz .LBB0_13
; %bb.12:
	global_load_dwordx4 v[8:11], v[200:201], off offset:624
	ds_read_b128 v[4:7], v26 offset:624
	ds_read_b128 v[196:199], v26 offset:8688
	s_waitcnt vmcnt(0) lgkmcnt(1)
	v_mul_f64 v[0:1], v[6:7], v[10:11]
	v_mul_f64 v[14:15], v[4:5], v[10:11]
	v_fma_f64 v[12:13], v[4:5], v[8:9], -v[0:1]
	v_fmac_f64_e32 v[14:15], v[6:7], v[8:9]
	global_load_dwordx4 v[8:11], v[200:201], off offset:1296
	ds_read_b128 v[4:7], v26 offset:1296
	ds_write_b128 v26, v[12:15] offset:624
	s_waitcnt vmcnt(0) lgkmcnt(1)
	v_mul_f64 v[0:1], v[6:7], v[10:11]
	v_mul_f64 v[14:15], v[4:5], v[10:11]
	v_fma_f64 v[12:13], v[4:5], v[8:9], -v[0:1]
	v_fmac_f64_e32 v[14:15], v[6:7], v[8:9]
	global_load_dwordx4 v[8:11], v[200:201], off offset:1968
	ds_read_b128 v[4:7], v26 offset:1968
	ds_write_b128 v26, v[12:15] offset:1296
	;; [unrolled: 8-line block ×5, first 2 shown]
	s_waitcnt vmcnt(0) lgkmcnt(1)
	v_mul_f64 v[0:1], v[6:7], v[10:11]
	v_fma_f64 v[12:13], v[4:5], v[8:9], -v[0:1]
	v_add_co_u32_e64 v0, s[2:3], s12, v200
	v_mul_f64 v[14:15], v[4:5], v[10:11]
	s_nop 0
	v_addc_co_u32_e64 v1, s[2:3], 0, v201, s[2:3]
	v_fmac_f64_e32 v[14:15], v[6:7], v[8:9]
	global_load_dwordx4 v[8:11], v[0:1], off offset:560
	ds_read_b128 v[4:7], v26 offset:4656
	ds_write_b128 v26, v[12:15] offset:3984
	s_waitcnt vmcnt(0) lgkmcnt(1)
	v_mul_f64 v[12:13], v[6:7], v[10:11]
	v_mul_f64 v[14:15], v[4:5], v[10:11]
	v_fma_f64 v[12:13], v[4:5], v[8:9], -v[12:13]
	v_fmac_f64_e32 v[14:15], v[6:7], v[8:9]
	global_load_dwordx4 v[8:11], v[0:1], off offset:1232
	ds_read_b128 v[4:7], v26 offset:5328
	ds_write_b128 v26, v[12:15] offset:4656
	s_waitcnt vmcnt(0) lgkmcnt(1)
	v_mul_f64 v[12:13], v[6:7], v[10:11]
	v_mul_f64 v[14:15], v[4:5], v[10:11]
	v_fma_f64 v[12:13], v[4:5], v[8:9], -v[12:13]
	v_fmac_f64_e32 v[14:15], v[6:7], v[8:9]
	global_load_dwordx4 v[8:11], v[0:1], off offset:1904
	ds_read_b128 v[4:7], v26 offset:6000
	ds_write_b128 v26, v[12:15] offset:5328
	s_waitcnt vmcnt(0) lgkmcnt(1)
	v_mul_f64 v[12:13], v[6:7], v[10:11]
	v_mul_f64 v[14:15], v[4:5], v[10:11]
	v_fma_f64 v[12:13], v[4:5], v[8:9], -v[12:13]
	v_fmac_f64_e32 v[14:15], v[6:7], v[8:9]
	global_load_dwordx4 v[8:11], v[0:1], off offset:2576
	ds_read_b128 v[4:7], v26 offset:6672
	ds_write_b128 v26, v[12:15] offset:6000
	s_waitcnt vmcnt(0) lgkmcnt(1)
	v_mul_f64 v[12:13], v[6:7], v[10:11]
	v_mul_f64 v[14:15], v[4:5], v[10:11]
	v_fma_f64 v[12:13], v[4:5], v[8:9], -v[12:13]
	v_fmac_f64_e32 v[14:15], v[6:7], v[8:9]
	global_load_dwordx4 v[8:11], v[0:1], off offset:3248
	ds_read_b128 v[4:7], v26 offset:7344
	ds_write_b128 v26, v[12:15] offset:6672
	s_waitcnt vmcnt(0) lgkmcnt(1)
	v_mul_f64 v[12:13], v[6:7], v[10:11]
	v_mul_f64 v[14:15], v[4:5], v[10:11]
	v_fma_f64 v[12:13], v[4:5], v[8:9], -v[12:13]
	v_fmac_f64_e32 v[14:15], v[6:7], v[8:9]
	global_load_dwordx4 v[8:11], v[0:1], off offset:3920
	ds_read_b128 v[4:7], v26 offset:8016
	ds_write_b128 v26, v[12:15] offset:7344
	s_waitcnt vmcnt(0) lgkmcnt(1)
	v_mul_f64 v[0:1], v[6:7], v[10:11]
	v_fma_f64 v[12:13], v[4:5], v[8:9], -v[0:1]
	v_add_co_u32_e64 v0, s[2:3], s13, v200
	v_mul_f64 v[14:15], v[4:5], v[10:11]
	s_nop 0
	v_addc_co_u32_e64 v1, s[2:3], 0, v201, s[2:3]
	v_fmac_f64_e32 v[14:15], v[6:7], v[8:9]
	global_load_dwordx4 v[4:7], v[0:1], off offset:496
	ds_write_b128 v26, v[12:15] offset:8016
	s_waitcnt vmcnt(0)
	v_mul_f64 v[0:1], v[198:199], v[6:7]
	v_mul_f64 v[10:11], v[196:197], v[6:7]
	v_fma_f64 v[8:9], v[196:197], v[4:5], -v[0:1]
	v_fmac_f64_e32 v[10:11], v[198:199], v[4:5]
	ds_write_b128 v26, v[8:11] offset:8688
.LBB0_13:
	s_or_b64 exec, exec, s[8:9]
	s_waitcnt lgkmcnt(0)
	s_barrier
	ds_read_b128 v[236:239], v255
	ds_read_b128 v[244:247], v255 offset:672
	ds_read_b128 v[232:235], v255 offset:1344
	;; [unrolled: 1-line block ×12, first 2 shown]
	s_and_saveexec_b64 s[2:3], vcc
	s_cbranch_execz .LBB0_15
; %bb.14:
	ds_read_b128 v[192:195], v26 offset:624
	ds_read_b128 v[188:191], v26 offset:1296
	;; [unrolled: 1-line block ×13, first 2 shown]
.LBB0_15:
	s_or_b64 exec, exec, s[2:3]
	s_waitcnt lgkmcnt(11)
	v_add_f64 v[0:1], v[236:237], v[244:245]
	v_add_f64 v[4:5], v[238:239], v[246:247]
	s_waitcnt lgkmcnt(10)
	v_add_f64 v[0:1], v[0:1], v[232:233]
	v_add_f64 v[4:5], v[4:5], v[234:235]
	;; [unrolled: 3-line block ×10, first 2 shown]
	s_mov_b32 s44, 0x4267c47c
	s_mov_b32 s14, 0x42a4c3d2
	;; [unrolled: 1-line block ×6, first 2 shown]
	s_waitcnt lgkmcnt(1)
	v_add_f64 v[0:1], v[0:1], v[240:241]
	v_add_f64 v[4:5], v[4:5], v[242:243]
	s_waitcnt lgkmcnt(0)
	v_add_f64 v[8:9], v[246:247], -v[250:251]
	s_mov_b32 s45, 0xbfddbe06
	s_mov_b32 s2, 0xe00740e9
	;; [unrolled: 1-line block ×12, first 2 shown]
	v_add_f64 v[220:221], v[0:1], v[248:249]
	v_add_f64 v[222:223], v[4:5], v[250:251]
	v_add_f64 v[0:1], v[244:245], v[248:249]
	v_add_f64 v[4:5], v[246:247], v[250:251]
	v_mul_f64 v[10:11], v[8:9], s[44:45]
	s_mov_b32 s3, 0x3fec55a7
	v_mul_f64 v[18:19], v[8:9], s[14:15]
	s_mov_b32 s9, 0x3fe22d96
	;; [unrolled: 2-line block ×6, first 2 shown]
	v_add_f64 v[6:7], v[244:245], -v[248:249]
	v_fma_f64 v[12:13], s[2:3], v[0:1], v[10:11]
	v_mul_f64 v[14:15], v[4:5], s[2:3]
	s_mov_b32 s13, 0x3fddbe06
	s_mov_b32 s12, s44
	v_fma_f64 v[10:11], v[0:1], s[2:3], -v[10:11]
	v_fma_f64 v[20:21], s[8:9], v[0:1], v[18:19]
	v_mul_f64 v[22:23], v[4:5], s[8:9]
	s_mov_b32 s40, s14
	v_fma_f64 v[18:19], v[0:1], s[8:9], -v[18:19]
	v_fma_f64 v[30:31], s[16:17], v[0:1], v[28:29]
	v_mul_f64 v[32:33], v[4:5], s[16:17]
	s_mov_b32 s21, 0x3fefc445
	s_mov_b32 s20, s30
	v_fma_f64 v[28:29], v[0:1], s[16:17], -v[28:29]
	v_fma_f64 v[38:39], s[18:19], v[0:1], v[36:37]
	v_mul_f64 v[40:41], v[4:5], s[18:19]
	s_mov_b32 s37, 0x3fedeba7
	;; [unrolled: 5-line block ×4, first 2 shown]
	s_mov_b32 s42, s34
	v_fma_f64 v[0:1], v[0:1], s[26:27], -v[8:9]
	v_add_f64 v[8:9], v[234:235], v[242:243]
	v_add_f64 v[234:235], v[234:235], -v[242:243]
	v_add_f64 v[12:13], v[236:237], v[12:13]
	v_fma_f64 v[16:17], s[12:13], v[6:7], v[14:15]
	v_add_f64 v[10:11], v[236:237], v[10:11]
	v_fmac_f64_e32 v[14:15], s[44:45], v[6:7]
	v_add_f64 v[20:21], v[236:237], v[20:21]
	v_fma_f64 v[24:25], s[40:41], v[6:7], v[22:23]
	v_add_f64 v[18:19], v[236:237], v[18:19]
	v_fmac_f64_e32 v[22:23], s[14:15], v[6:7]
	;; [unrolled: 4-line block ×6, first 2 shown]
	v_add_f64 v[6:7], v[232:233], v[240:241]
	v_mul_f64 v[236:237], v[234:235], s[14:15]
	v_add_f64 v[16:17], v[238:239], v[16:17]
	v_add_f64 v[14:15], v[238:239], v[14:15]
	;; [unrolled: 1-line block ×12, first 2 shown]
	v_fma_f64 v[238:239], s[8:9], v[6:7], v[236:237]
	v_add_f64 v[232:233], v[232:233], -v[240:241]
	v_add_f64 v[12:13], v[238:239], v[12:13]
	v_mul_f64 v[238:239], v[8:9], s[8:9]
	v_fma_f64 v[236:237], v[6:7], s[8:9], -v[236:237]
	v_fma_f64 v[240:241], s[40:41], v[232:233], v[238:239]
	v_add_f64 v[10:11], v[236:237], v[10:11]
	v_fmac_f64_e32 v[238:239], s[14:15], v[232:233]
	v_mul_f64 v[236:237], v[234:235], s[24:25]
	v_add_f64 v[14:15], v[238:239], v[14:15]
	v_fma_f64 v[238:239], s[18:19], v[6:7], v[236:237]
	v_add_f64 v[20:21], v[238:239], v[20:21]
	v_mul_f64 v[238:239], v[8:9], s[18:19]
	v_fma_f64 v[236:237], v[6:7], s[18:19], -v[236:237]
	v_add_f64 v[16:17], v[240:241], v[16:17]
	v_fma_f64 v[240:241], s[36:37], v[232:233], v[238:239]
	v_add_f64 v[18:19], v[236:237], v[18:19]
	v_fmac_f64_e32 v[238:239], s[24:25], v[232:233]
	v_mul_f64 v[236:237], v[234:235], s[34:35]
	v_add_f64 v[22:23], v[238:239], v[22:23]
	v_fma_f64 v[238:239], s[26:27], v[6:7], v[236:237]
	v_add_f64 v[30:31], v[238:239], v[30:31]
	v_mul_f64 v[238:239], v[8:9], s[26:27]
	v_fma_f64 v[236:237], v[6:7], s[26:27], -v[236:237]
	v_add_f64 v[24:25], v[240:241], v[24:25]
	v_fma_f64 v[240:241], s[42:43], v[232:233], v[238:239]
	v_add_f64 v[28:29], v[236:237], v[28:29]
	v_fmac_f64_e32 v[238:239], s[34:35], v[232:233]
	v_mul_f64 v[236:237], v[234:235], s[28:29]
	v_add_f64 v[32:33], v[238:239], v[32:33]
	v_fma_f64 v[238:239], s[22:23], v[6:7], v[236:237]
	v_add_f64 v[38:39], v[238:239], v[38:39]
	v_mul_f64 v[238:239], v[8:9], s[22:23]
	v_fma_f64 v[236:237], v[6:7], s[22:23], -v[236:237]
	v_add_f64 v[34:35], v[240:241], v[34:35]
	v_fma_f64 v[240:241], s[38:39], v[232:233], v[238:239]
	v_add_f64 v[36:37], v[236:237], v[36:37]
	v_fmac_f64_e32 v[238:239], s[28:29], v[232:233]
	v_mul_f64 v[236:237], v[234:235], s[20:21]
	v_add_f64 v[40:41], v[238:239], v[40:41]
	v_fma_f64 v[238:239], s[16:17], v[6:7], v[236:237]
	v_add_f64 v[46:47], v[238:239], v[46:47]
	v_mul_f64 v[238:239], v[8:9], s[16:17]
	v_add_f64 v[42:43], v[240:241], v[42:43]
	v_fma_f64 v[240:241], s[30:31], v[232:233], v[238:239]
	v_fmac_f64_e32 v[238:239], s[20:21], v[232:233]
	v_mul_f64 v[8:9], v[8:9], s[2:3]
	v_fma_f64 v[236:237], v[6:7], s[16:17], -v[236:237]
	v_add_f64 v[48:49], v[238:239], v[48:49]
	v_mul_f64 v[234:235], v[234:235], s[12:13]
	v_fma_f64 v[238:239], s[44:45], v[232:233], v[8:9]
	v_fmac_f64_e32 v[8:9], s[12:13], v[232:233]
	v_add_f64 v[44:45], v[236:237], v[44:45]
	v_fma_f64 v[236:237], s[2:3], v[6:7], v[234:235]
	v_fma_f64 v[6:7], v[6:7], s[2:3], -v[234:235]
	v_add_f64 v[4:5], v[8:9], v[4:5]
	v_add_f64 v[8:9], v[226:227], v[230:231]
	v_add_f64 v[226:227], v[226:227], -v[230:231]
	v_add_f64 v[0:1], v[6:7], v[0:1]
	v_add_f64 v[6:7], v[224:225], v[228:229]
	v_add_f64 v[224:225], v[224:225], -v[228:229]
	v_mul_f64 v[228:229], v[226:227], s[30:31]
	v_fma_f64 v[230:231], s[16:17], v[6:7], v[228:229]
	v_add_f64 v[12:13], v[230:231], v[12:13]
	v_mul_f64 v[230:231], v[8:9], s[16:17]
	v_fma_f64 v[228:229], v[6:7], s[16:17], -v[228:229]
	v_fma_f64 v[232:233], s[20:21], v[224:225], v[230:231]
	v_add_f64 v[10:11], v[228:229], v[10:11]
	v_fmac_f64_e32 v[230:231], s[30:31], v[224:225]
	v_mul_f64 v[228:229], v[226:227], s[34:35]
	v_add_f64 v[14:15], v[230:231], v[14:15]
	v_fma_f64 v[230:231], s[26:27], v[6:7], v[228:229]
	v_add_f64 v[20:21], v[230:231], v[20:21]
	v_mul_f64 v[230:231], v[8:9], s[26:27]
	v_fma_f64 v[228:229], v[6:7], s[26:27], -v[228:229]
	v_add_f64 v[16:17], v[232:233], v[16:17]
	v_fma_f64 v[232:233], s[42:43], v[224:225], v[230:231]
	v_add_f64 v[18:19], v[228:229], v[18:19]
	v_fmac_f64_e32 v[230:231], s[34:35], v[224:225]
	v_mul_f64 v[228:229], v[226:227], s[36:37]
	v_add_f64 v[22:23], v[230:231], v[22:23]
	v_fma_f64 v[230:231], s[18:19], v[6:7], v[228:229]
	v_add_f64 v[30:31], v[230:231], v[30:31]
	v_mul_f64 v[230:231], v[8:9], s[18:19]
	v_fma_f64 v[228:229], v[6:7], s[18:19], -v[228:229]
	v_add_f64 v[24:25], v[232:233], v[24:25]
	v_fma_f64 v[232:233], s[24:25], v[224:225], v[230:231]
	v_add_f64 v[28:29], v[228:229], v[28:29]
	v_fmac_f64_e32 v[230:231], s[36:37], v[224:225]
	v_mul_f64 v[228:229], v[226:227], s[12:13]
	v_add_f64 v[32:33], v[230:231], v[32:33]
	v_fma_f64 v[230:231], s[2:3], v[6:7], v[228:229]
	v_add_f64 v[38:39], v[230:231], v[38:39]
	v_mul_f64 v[230:231], v[8:9], s[2:3]
	v_fma_f64 v[228:229], v[6:7], s[2:3], -v[228:229]
	v_add_f64 v[34:35], v[232:233], v[34:35]
	v_fma_f64 v[232:233], s[44:45], v[224:225], v[230:231]
	v_add_f64 v[36:37], v[228:229], v[36:37]
	v_fmac_f64_e32 v[230:231], s[12:13], v[224:225]
	v_mul_f64 v[228:229], v[226:227], s[14:15]
	v_add_f64 v[40:41], v[230:231], v[40:41]
	v_fma_f64 v[230:231], s[8:9], v[6:7], v[228:229]
	v_add_f64 v[46:47], v[230:231], v[46:47]
	v_mul_f64 v[230:231], v[8:9], s[8:9]
	v_add_f64 v[42:43], v[232:233], v[42:43]
	v_fma_f64 v[232:233], s[40:41], v[224:225], v[230:231]
	v_fmac_f64_e32 v[230:231], s[14:15], v[224:225]
	v_mul_f64 v[8:9], v[8:9], s[22:23]
	v_fma_f64 v[228:229], v[6:7], s[8:9], -v[228:229]
	v_add_f64 v[48:49], v[230:231], v[48:49]
	v_mul_f64 v[226:227], v[226:227], s[38:39]
	v_fma_f64 v[230:231], s[28:29], v[224:225], v[8:9]
	v_fmac_f64_e32 v[8:9], s[38:39], v[224:225]
	v_add_f64 v[44:45], v[228:229], v[44:45]
	v_fma_f64 v[228:229], s[22:23], v[6:7], v[226:227]
	v_fma_f64 v[6:7], v[6:7], s[22:23], -v[226:227]
	v_add_f64 v[4:5], v[8:9], v[4:5]
	v_add_f64 v[8:9], v[214:215], v[218:219]
	v_add_f64 v[214:215], v[214:215], -v[218:219]
	v_add_f64 v[0:1], v[6:7], v[0:1]
	v_add_f64 v[6:7], v[212:213], v[216:217]
	v_add_f64 v[212:213], v[212:213], -v[216:217]
	v_mul_f64 v[216:217], v[214:215], s[24:25]
	v_fma_f64 v[218:219], s[18:19], v[6:7], v[216:217]
	;; [unrolled: 61-line block ×3, first 2 shown]
	v_add_f64 v[12:13], v[210:211], v[12:13]
	v_mul_f64 v[210:211], v[8:9], s[22:23]
	v_fma_f64 v[208:209], v[6:7], s[22:23], -v[208:209]
	v_fma_f64 v[212:213], s[28:29], v[204:205], v[210:211]
	v_add_f64 v[10:11], v[208:209], v[10:11]
	v_fmac_f64_e32 v[210:211], s[38:39], v[204:205]
	v_mul_f64 v[208:209], v[206:207], s[20:21]
	v_add_f64 v[14:15], v[210:211], v[14:15]
	v_fma_f64 v[210:211], s[16:17], v[6:7], v[208:209]
	v_add_f64 v[20:21], v[210:211], v[20:21]
	v_mul_f64 v[210:211], v[8:9], s[16:17]
	v_fma_f64 v[208:209], v[6:7], s[16:17], -v[208:209]
	v_add_f64 v[16:17], v[212:213], v[16:17]
	v_fma_f64 v[212:213], s[30:31], v[204:205], v[210:211]
	v_add_f64 v[18:19], v[208:209], v[18:19]
	v_fmac_f64_e32 v[210:211], s[20:21], v[204:205]
	v_mul_f64 v[208:209], v[206:207], s[14:15]
	v_add_f64 v[22:23], v[210:211], v[22:23]
	v_fma_f64 v[210:211], s[8:9], v[6:7], v[208:209]
	v_add_f64 v[30:31], v[210:211], v[30:31]
	v_mul_f64 v[210:211], v[8:9], s[8:9]
	v_fma_f64 v[208:209], v[6:7], s[8:9], -v[208:209]
	v_add_f64 v[24:25], v[212:213], v[24:25]
	;; [unrolled: 10-line block ×3, first 2 shown]
	v_fma_f64 v[212:213], s[34:35], v[204:205], v[210:211]
	v_add_f64 v[36:37], v[208:209], v[36:37]
	v_fmac_f64_e32 v[210:211], s[42:43], v[204:205]
	v_mul_f64 v[208:209], v[206:207], s[12:13]
	v_add_f64 v[40:41], v[210:211], v[40:41]
	v_fma_f64 v[210:211], s[2:3], v[6:7], v[208:209]
	v_add_f64 v[46:47], v[210:211], v[46:47]
	v_mul_f64 v[210:211], v[8:9], s[2:3]
	v_fma_f64 v[208:209], v[6:7], s[2:3], -v[208:209]
	v_mul_f64 v[206:207], v[206:207], s[24:25]
	v_add_f64 v[42:43], v[212:213], v[42:43]
	v_fma_f64 v[212:213], s[44:45], v[204:205], v[210:211]
	v_add_f64 v[44:45], v[208:209], v[44:45]
	v_fmac_f64_e32 v[210:211], s[12:13], v[204:205]
	v_fma_f64 v[208:209], s[18:19], v[6:7], v[206:207]
	v_mul_f64 v[8:9], v[8:9], s[18:19]
	v_fma_f64 v[6:7], v[6:7], s[18:19], -v[206:207]
	v_add_f64 v[206:207], v[198:199], v[202:203]
	v_add_f64 v[202:203], v[198:199], -v[202:203]
	v_add_f64 v[48:49], v[210:211], v[48:49]
	v_fma_f64 v[210:211], s[36:37], v[204:205], v[8:9]
	v_fmac_f64_e32 v[8:9], s[24:25], v[204:205]
	v_add_f64 v[204:205], v[196:197], v[200:201]
	v_add_f64 v[200:201], v[196:197], -v[200:201]
	v_mul_f64 v[196:197], v[202:203], s[34:35]
	v_add_f64 v[8:9], v[8:9], v[4:5]
	v_fma_f64 v[4:5], s[26:27], v[204:205], v[196:197]
	v_add_f64 v[4:5], v[4:5], v[12:13]
	v_mul_f64 v[12:13], v[206:207], s[26:27]
	v_add_f64 v[0:1], v[6:7], v[0:1]
	v_fma_f64 v[6:7], s[42:43], v[200:201], v[12:13]
	v_add_f64 v[6:7], v[6:7], v[16:17]
	v_fma_f64 v[16:17], v[204:205], s[26:27], -v[196:197]
	v_add_f64 v[196:197], v[16:17], v[10:11]
	v_fmac_f64_e32 v[12:13], s[34:35], v[200:201]
	v_mul_f64 v[16:17], v[206:207], s[2:3]
	v_add_f64 v[198:199], v[12:13], v[14:15]
	v_mul_f64 v[14:15], v[202:203], s[12:13]
	v_fma_f64 v[12:13], s[44:45], v[200:201], v[16:17]
	v_fma_f64 v[10:11], s[2:3], v[204:205], v[14:15]
	v_add_f64 v[12:13], v[12:13], v[24:25]
	v_fmac_f64_e32 v[16:17], s[12:13], v[200:201]
	v_mul_f64 v[24:25], v[206:207], s[22:23]
	v_add_f64 v[10:11], v[10:11], v[20:21]
	v_fma_f64 v[14:15], v[204:205], s[2:3], -v[14:15]
	v_add_f64 v[16:17], v[16:17], v[22:23]
	v_mul_f64 v[22:23], v[202:203], s[38:39]
	v_fma_f64 v[20:21], s[28:29], v[200:201], v[24:25]
	v_add_f64 v[14:15], v[14:15], v[18:19]
	v_fma_f64 v[18:19], s[22:23], v[204:205], v[22:23]
	v_add_f64 v[20:21], v[20:21], v[34:35]
	v_fmac_f64_e32 v[24:25], s[38:39], v[200:201]
	v_mul_f64 v[34:35], v[206:207], s[8:9]
	v_add_f64 v[50:51], v[240:241], v[50:51]
	v_add_f64 v[18:19], v[18:19], v[30:31]
	v_fma_f64 v[22:23], v[204:205], s[22:23], -v[22:23]
	v_add_f64 v[24:25], v[24:25], v[32:33]
	v_mul_f64 v[32:33], v[202:203], s[40:41]
	v_fma_f64 v[30:31], s[14:15], v[200:201], v[34:35]
	v_add_f64 v[50:51], v[232:233], v[50:51]
	v_add_f64 v[22:23], v[22:23], v[28:29]
	v_fma_f64 v[28:29], s[8:9], v[204:205], v[32:33]
	v_add_f64 v[30:31], v[30:31], v[42:43]
	v_fmac_f64_e32 v[34:35], s[40:41], v[200:201]
	v_mul_f64 v[42:43], v[206:207], s[18:19]
	v_add_f64 v[50:51], v[224:225], v[50:51]
	v_add_f64 v[28:29], v[28:29], v[38:39]
	v_fma_f64 v[32:33], v[204:205], s[8:9], -v[32:33]
	v_add_f64 v[34:35], v[34:35], v[40:41]
	v_mul_f64 v[40:41], v[202:203], s[24:25]
	v_fma_f64 v[38:39], s[36:37], v[200:201], v[42:43]
	v_fmac_f64_e32 v[42:43], s[24:25], v[200:201]
	v_add_f64 v[50:51], v[212:213], v[50:51]
	v_add_f64 v[32:33], v[32:33], v[36:37]
	v_fma_f64 v[36:37], s[18:19], v[204:205], v[40:41]
	v_fma_f64 v[40:41], v[204:205], s[18:19], -v[40:41]
	v_add_f64 v[42:43], v[42:43], v[48:49]
	v_mul_f64 v[48:49], v[202:203], s[20:21]
	v_add_f64 v[38:39], v[38:39], v[50:51]
	v_add_f64 v[40:41], v[40:41], v[44:45]
	v_fma_f64 v[44:45], s[16:17], v[204:205], v[48:49]
	v_mul_f64 v[50:51], v[206:207], s[16:17]
	v_fma_f64 v[48:49], v[204:205], s[16:17], -v[48:49]
	v_add_f64 v[36:37], v[36:37], v[46:47]
	v_fma_f64 v[46:47], s[30:31], v[200:201], v[50:51]
	v_add_f64 v[48:49], v[48:49], v[0:1]
	v_fmac_f64_e32 v[50:51], s[20:21], v[200:201]
	v_add_f64 v[0:1], v[192:193], v[188:189]
	v_add_f64 v[50:51], v[50:51], v[8:9]
	;; [unrolled: 1-line block ×25, first 2 shown]
	v_add_f64 v[228:229], v[188:189], -v[152:153]
	v_add_f64 v[8:9], v[8:9], v[150:151]
	v_add_f64 v[200:201], v[0:1], v[152:153]
	;; [unrolled: 1-line block ×4, first 2 shown]
	v_add_f64 v[212:213], v[190:191], -v[154:155]
	v_mul_f64 v[152:153], v[228:229], s[44:45]
	v_add_f64 v[202:203], v[8:9], v[154:155]
	v_mul_f64 v[0:1], v[212:213], s[44:45]
	v_fma_f64 v[154:155], v[206:207], s[2:3], -v[152:153]
	v_add_f64 v[224:225], v[94:95], -v[150:151]
	v_fma_f64 v[8:9], s[2:3], v[204:205], v[0:1]
	v_add_f64 v[188:189], v[194:195], v[154:155]
	v_add_f64 v[154:155], v[92:93], v[148:149]
	v_add_f64 v[236:237], v[92:93], -v[148:149]
	v_mul_f64 v[148:149], v[224:225], s[14:15]
	v_add_f64 v[8:9], v[192:193], v[8:9]
	v_add_f64 v[190:191], v[94:95], v[150:151]
	v_fma_f64 v[92:93], s[8:9], v[154:155], v[148:149]
	v_mul_f64 v[150:151], v[236:237], s[14:15]
	v_add_f64 v[8:9], v[92:93], v[8:9]
	v_fma_f64 v[92:93], v[190:191], s[8:9], -v[150:151]
	v_add_f64 v[232:233], v[98:99], -v[146:147]
	v_add_f64 v[238:239], v[238:239], v[246:247]
	v_add_f64 v[92:93], v[92:93], v[188:189]
	;; [unrolled: 1-line block ×3, first 2 shown]
	v_add_f64 v[242:243], v[96:97], -v[144:145]
	v_mul_f64 v[144:145], v[232:233], s[30:31]
	v_add_f64 v[230:231], v[230:231], v[238:239]
	v_add_f64 v[208:209], v[208:209], v[216:217]
	;; [unrolled: 1-line block ×3, first 2 shown]
	v_fma_f64 v[94:95], s[16:17], v[188:189], v[144:145]
	v_mul_f64 v[146:147], v[242:243], s[30:31]
	v_add_f64 v[238:239], v[102:103], -v[142:143]
	v_add_f64 v[44:45], v[44:45], v[208:209]
	v_add_f64 v[8:9], v[94:95], v[8:9]
	v_fma_f64 v[94:95], v[214:215], s[16:17], -v[146:147]
	v_add_f64 v[208:209], v[100:101], v[140:141]
	v_add_f64 v[246:247], v[100:101], -v[140:141]
	v_mul_f64 v[140:141], v[238:239], s[24:25]
	v_add_f64 v[218:219], v[218:219], v[230:231]
	v_add_f64 v[92:93], v[94:95], v[92:93]
	;; [unrolled: 1-line block ×3, first 2 shown]
	v_fma_f64 v[94:95], s[18:19], v[208:209], v[140:141]
	v_mul_f64 v[142:143], v[246:247], s[24:25]
	v_add_f64 v[244:245], v[110:111], -v[138:139]
	v_add_f64 v[210:211], v[210:211], v[218:219]
	v_add_f64 v[8:9], v[94:95], v[8:9]
	v_fma_f64 v[94:95], v[226:227], s[18:19], -v[142:143]
	v_add_f64 v[216:217], v[108:109], v[136:137]
	v_add_f64 v[250:251], v[108:109], -v[136:137]
	v_mul_f64 v[136:137], v[244:245], s[38:39]
	v_add_f64 v[46:47], v[46:47], v[210:211]
	v_add_f64 v[92:93], v[94:95], v[92:93]
	;; [unrolled: 1-line block ×3, first 2 shown]
	v_fma_f64 v[94:95], s[22:23], v[216:217], v[136:137]
	v_mul_f64 v[210:211], v[250:251], s[38:39]
	v_add_f64 v[94:95], v[94:95], v[8:9]
	v_fma_f64 v[8:9], v[234:235], s[22:23], -v[210:211]
	v_add_f64 v[248:249], v[122:123], -v[130:131]
	v_add_f64 v[96:97], v[8:9], v[92:93]
	v_add_f64 v[230:231], v[120:121], v[128:129]
	v_add_f64 v[8:9], v[120:121], -v[128:129]
	v_mul_f64 v[138:139], v[248:249], s[34:35]
	v_add_f64 v[240:241], v[122:123], v[130:131]
	v_fma_f64 v[92:93], s[26:27], v[230:231], v[138:139]
	v_mul_f64 v[218:219], v[8:9], s[34:35]
	v_add_f64 v[92:93], v[92:93], v[94:95]
	v_fma_f64 v[94:95], v[240:241], s[26:27], -v[218:219]
	v_add_f64 v[94:95], v[94:95], v[96:97]
	s_barrier
	ds_write_b128 v3, v[220:223]
	ds_write_b128 v3, v[4:7] offset:16
	ds_write_b128 v3, v[10:13] offset:32
	;; [unrolled: 1-line block ×12, first 2 shown]
	s_and_saveexec_b64 s[44:45], vcc
	s_cbranch_execz .LBB0_17
; %bb.16:
	v_mul_f64 v[48:49], v[228:229], s[34:35]
	v_mul_f64 v[44:45], v[236:237], s[12:13]
	v_fma_f64 v[50:51], s[26:27], v[206:207], v[48:49]
	v_mul_f64 v[40:41], v[242:243], s[38:39]
	v_fma_f64 v[46:47], s[2:3], v[190:191], v[44:45]
	v_add_f64 v[50:51], v[194:195], v[50:51]
	v_mul_f64 v[110:111], v[212:213], s[34:35]
	v_mul_f64 v[36:37], v[246:247], s[40:41]
	v_fma_f64 v[42:43], s[22:23], v[214:215], v[40:41]
	v_add_f64 v[46:47], v[46:47], v[50:51]
	v_mul_f64 v[108:109], v[224:225], s[12:13]
	v_fma_f64 v[120:121], v[204:205], s[26:27], -v[110:111]
	v_mul_f64 v[32:33], v[250:251], s[24:25]
	v_fma_f64 v[38:39], s[8:9], v[226:227], v[36:37]
	v_add_f64 v[42:43], v[42:43], v[46:47]
	v_mul_f64 v[100:101], v[232:233], s[38:39]
	v_fma_f64 v[102:103], v[154:155], s[2:3], -v[108:109]
	v_add_f64 v[120:121], v[192:193], v[120:121]
	v_mul_f64 v[28:29], v[8:9], s[20:21]
	v_fma_f64 v[34:35], s[18:19], v[234:235], v[32:33]
	v_add_f64 v[38:39], v[38:39], v[42:43]
	v_mul_f64 v[46:47], v[238:239], s[40:41]
	v_fma_f64 v[96:97], v[188:189], s[22:23], -v[100:101]
	v_add_f64 v[102:103], v[102:103], v[120:121]
	v_fma_f64 v[30:31], s[16:17], v[240:241], v[28:29]
	v_add_f64 v[34:35], v[34:35], v[38:39]
	v_mul_f64 v[38:39], v[244:245], s[24:25]
	v_fma_f64 v[50:51], v[208:209], s[8:9], -v[46:47]
	v_add_f64 v[96:97], v[96:97], v[102:103]
	v_add_f64 v[98:99], v[30:31], v[34:35]
	v_mul_f64 v[30:31], v[248:249], s[20:21]
	v_fma_f64 v[42:43], v[216:217], s[18:19], -v[38:39]
	v_add_f64 v[50:51], v[50:51], v[96:97]
	v_fma_f64 v[34:35], v[230:231], s[16:17], -v[30:31]
	v_add_f64 v[42:43], v[42:43], v[50:51]
	v_add_f64 v[96:97], v[34:35], v[42:43]
	v_fma_f64 v[42:43], v[206:207], s[26:27], -v[48:49]
	v_fma_f64 v[34:35], v[226:227], s[8:9], -v[36:37]
	;; [unrolled: 1-line block ×4, first 2 shown]
	v_add_f64 v[42:43], v[194:195], v[42:43]
	v_add_f64 v[40:41], v[40:41], v[42:43]
	;; [unrolled: 1-line block ×3, first 2 shown]
	v_fma_f64 v[32:33], v[234:235], s[18:19], -v[32:33]
	v_add_f64 v[34:35], v[34:35], v[36:37]
	v_fma_f64 v[28:29], v[240:241], s[16:17], -v[28:29]
	v_add_f64 v[32:33], v[32:33], v[34:35]
	v_fmac_f64_e32 v[110:111], s[26:27], v[204:205]
	v_add_f64 v[102:103], v[28:29], v[32:33]
	v_fmac_f64_e32 v[108:109], s[2:3], v[154:155]
	;; [unrolled: 2-line block ×3, first 2 shown]
	v_add_f64 v[28:29], v[108:109], v[28:29]
	v_mul_f64 v[48:49], v[228:229], s[38:39]
	v_fmac_f64_e32 v[46:47], s[8:9], v[208:209]
	v_add_f64 v[28:29], v[100:101], v[28:29]
	v_mul_f64 v[44:45], v[236:237], s[20:21]
	v_fma_f64 v[50:51], s[22:23], v[206:207], v[48:49]
	v_add_f64 v[28:29], v[46:47], v[28:29]
	v_mul_f64 v[40:41], v[242:243], s[14:15]
	v_fma_f64 v[46:47], s[16:17], v[190:191], v[44:45]
	v_add_f64 v[50:51], v[194:195], v[50:51]
	v_mul_f64 v[130:131], v[212:213], s[38:39]
	v_accvgpr_write_b32 a0, v252
	v_fmac_f64_e32 v[38:39], s[18:19], v[216:217]
	v_mul_f64 v[36:37], v[246:247], s[42:43]
	v_fma_f64 v[42:43], s[8:9], v[214:215], v[40:41]
	v_add_f64 v[46:47], v[46:47], v[50:51]
	v_mul_f64 v[128:129], v[224:225], s[20:21]
	v_accvgpr_write_b32 a1, v253
	v_fma_f64 v[252:253], v[204:205], s[22:23], -v[130:131]
	v_fmac_f64_e32 v[30:31], s[16:17], v[230:231]
	v_add_f64 v[28:29], v[38:39], v[28:29]
	v_mul_f64 v[32:33], v[250:251], s[12:13]
	v_fma_f64 v[38:39], s[26:27], v[226:227], v[36:37]
	v_add_f64 v[42:43], v[42:43], v[46:47]
	v_mul_f64 v[120:121], v[232:233], s[14:15]
	v_fma_f64 v[122:123], v[154:155], s[16:17], -v[128:129]
	v_add_f64 v[252:253], v[192:193], v[252:253]
	v_add_f64 v[100:101], v[30:31], v[28:29]
	v_mul_f64 v[28:29], v[8:9], s[24:25]
	v_fma_f64 v[34:35], s[2:3], v[234:235], v[32:33]
	v_add_f64 v[38:39], v[38:39], v[42:43]
	v_mul_f64 v[46:47], v[238:239], s[42:43]
	v_fma_f64 v[108:109], v[188:189], s[8:9], -v[120:121]
	v_add_f64 v[122:123], v[122:123], v[252:253]
	v_fma_f64 v[30:31], s[18:19], v[240:241], v[28:29]
	v_add_f64 v[34:35], v[34:35], v[38:39]
	v_mul_f64 v[38:39], v[244:245], s[12:13]
	v_fma_f64 v[50:51], v[208:209], s[26:27], -v[46:47]
	v_add_f64 v[108:109], v[108:109], v[122:123]
	v_add_f64 v[110:111], v[30:31], v[34:35]
	v_mul_f64 v[30:31], v[248:249], s[24:25]
	v_fma_f64 v[42:43], v[216:217], s[2:3], -v[38:39]
	v_add_f64 v[50:51], v[50:51], v[108:109]
	v_fma_f64 v[34:35], v[230:231], s[18:19], -v[30:31]
	v_add_f64 v[42:43], v[42:43], v[50:51]
	v_add_f64 v[108:109], v[34:35], v[42:43]
	v_fma_f64 v[42:43], v[206:207], s[22:23], -v[48:49]
	v_fma_f64 v[34:35], v[226:227], s[26:27], -v[36:37]
	;; [unrolled: 1-line block ×4, first 2 shown]
	v_add_f64 v[42:43], v[194:195], v[42:43]
	v_add_f64 v[40:41], v[40:41], v[42:43]
	;; [unrolled: 1-line block ×3, first 2 shown]
	v_fma_f64 v[32:33], v[234:235], s[2:3], -v[32:33]
	v_add_f64 v[34:35], v[34:35], v[36:37]
	v_fma_f64 v[28:29], v[240:241], s[18:19], -v[28:29]
	v_add_f64 v[32:33], v[32:33], v[34:35]
	v_fmac_f64_e32 v[130:131], s[22:23], v[204:205]
	v_add_f64 v[122:123], v[28:29], v[32:33]
	v_fmac_f64_e32 v[128:129], s[16:17], v[154:155]
	;; [unrolled: 2-line block ×3, first 2 shown]
	v_add_f64 v[28:29], v[128:129], v[28:29]
	v_mul_f64 v[48:49], v[228:229], s[24:25]
	v_fmac_f64_e32 v[46:47], s[26:27], v[208:209]
	v_add_f64 v[28:29], v[120:121], v[28:29]
	v_mul_f64 v[44:45], v[236:237], s[28:29]
	v_fma_f64 v[50:51], s[18:19], v[206:207], v[48:49]
	v_accvgpr_write_b32 a58, v60
	v_add_f64 v[28:29], v[46:47], v[28:29]
	v_mul_f64 v[40:41], v[242:243], s[12:13]
	v_fma_f64 v[46:47], s[22:23], v[190:191], v[44:45]
	v_add_f64 v[50:51], v[194:195], v[50:51]
	v_accvgpr_write_b32 a59, v61
	v_accvgpr_write_b32 a60, v62
	;; [unrolled: 1-line block ×3, first 2 shown]
	v_mul_f64 v[60:61], v[212:213], s[24:25]
	v_fmac_f64_e32 v[38:39], s[2:3], v[216:217]
	v_mul_f64 v[36:37], v[246:247], s[30:31]
	v_fma_f64 v[42:43], s[2:3], v[214:215], v[40:41]
	v_add_f64 v[46:47], v[46:47], v[50:51]
	v_accvgpr_write_b32 a3, v52
	v_accvgpr_write_b32 a70, v53
	v_mul_f64 v[52:53], v[224:225], s[28:29]
	v_fma_f64 v[62:63], v[204:205], s[18:19], -v[60:61]
	v_fmac_f64_e32 v[30:31], s[18:19], v[230:231]
	v_add_f64 v[28:29], v[38:39], v[28:29]
	v_mul_f64 v[32:33], v[250:251], s[42:43]
	v_fma_f64 v[38:39], s[16:17], v[226:227], v[36:37]
	v_add_f64 v[42:43], v[42:43], v[46:47]
	v_mul_f64 v[252:253], v[232:233], s[12:13]
	v_accvgpr_write_b32 a71, v54
	v_accvgpr_write_b32 a72, v55
	v_fma_f64 v[54:55], v[154:155], s[22:23], -v[52:53]
	v_add_f64 v[62:63], v[192:193], v[62:63]
	v_add_f64 v[120:121], v[30:31], v[28:29]
	v_mul_f64 v[28:29], v[8:9], s[40:41]
	v_fma_f64 v[34:35], s[26:27], v[234:235], v[32:33]
	v_add_f64 v[38:39], v[38:39], v[42:43]
	v_mul_f64 v[46:47], v[238:239], s[30:31]
	v_fma_f64 v[128:129], v[188:189], s[2:3], -v[252:253]
	v_add_f64 v[54:55], v[54:55], v[62:63]
	v_fma_f64 v[30:31], s[8:9], v[240:241], v[28:29]
	v_add_f64 v[34:35], v[34:35], v[38:39]
	v_mul_f64 v[38:39], v[244:245], s[42:43]
	v_fma_f64 v[50:51], v[208:209], s[16:17], -v[46:47]
	v_add_f64 v[54:55], v[128:129], v[54:55]
	v_add_f64 v[130:131], v[30:31], v[34:35]
	v_mul_f64 v[34:35], v[248:249], s[40:41]
	v_fma_f64 v[42:43], v[216:217], s[26:27], -v[38:39]
	v_add_f64 v[50:51], v[50:51], v[54:55]
	v_fma_f64 v[30:31], v[230:231], s[8:9], -v[34:35]
	v_add_f64 v[42:43], v[42:43], v[50:51]
	v_add_f64 v[128:129], v[30:31], v[42:43]
	v_fma_f64 v[42:43], v[206:207], s[18:19], -v[48:49]
	v_fma_f64 v[30:31], v[234:235], s[26:27], -v[32:33]
	;; [unrolled: 1-line block ×5, first 2 shown]
	v_add_f64 v[42:43], v[194:195], v[42:43]
	v_add_f64 v[40:41], v[40:41], v[42:43]
	v_add_f64 v[36:37], v[36:37], v[40:41]
	v_add_f64 v[32:33], v[32:33], v[36:37]
	v_fma_f64 v[28:29], v[240:241], s[8:9], -v[28:29]
	v_add_f64 v[30:31], v[30:31], v[32:33]
	v_fmac_f64_e32 v[60:61], s[18:19], v[204:205]
	v_add_f64 v[30:31], v[28:29], v[30:31]
	v_fmac_f64_e32 v[52:53], s[22:23], v[154:155]
	v_add_f64 v[28:29], v[192:193], v[60:61]
	v_add_f64 v[28:29], v[52:53], v[28:29]
	v_mul_f64 v[52:53], v[228:229], s[30:31]
	v_fmac_f64_e32 v[252:253], s[2:3], v[188:189]
	v_mul_f64 v[48:49], v[236:237], s[34:35]
	v_fma_f64 v[54:55], s[16:17], v[206:207], v[52:53]
	v_accvgpr_write_b32 a73, v59
	v_mul_f64 v[58:59], v[212:213], s[30:31]
	v_fmac_f64_e32 v[46:47], s[16:17], v[208:209]
	v_add_f64 v[28:29], v[252:253], v[28:29]
	v_mul_f64 v[44:45], v[242:243], s[36:37]
	v_fma_f64 v[50:51], s[26:27], v[190:191], v[48:49]
	v_add_f64 v[54:55], v[194:195], v[54:55]
	v_accvgpr_write_b32 a57, v2
	v_mul_f64 v[2:3], v[224:225], s[34:35]
	v_fma_f64 v[220:221], v[204:205], s[16:17], -v[58:59]
	v_fmac_f64_e32 v[38:39], s[26:27], v[216:217]
	v_add_f64 v[28:29], v[46:47], v[28:29]
	v_mul_f64 v[40:41], v[246:247], s[12:13]
	v_fma_f64 v[46:47], s[18:19], v[214:215], v[44:45]
	v_add_f64 v[50:51], v[50:51], v[54:55]
	v_mul_f64 v[62:63], v[232:233], s[36:37]
	v_mov_b32_e32 v27, v57
	v_fma_f64 v[56:57], v[154:155], s[26:27], -v[2:3]
	v_add_f64 v[220:221], v[192:193], v[220:221]
	v_fmac_f64_e32 v[34:35], s[8:9], v[230:231]
	v_add_f64 v[28:29], v[38:39], v[28:29]
	v_mul_f64 v[38:39], v[250:251], s[14:15]
	v_fma_f64 v[42:43], s[2:3], v[226:227], v[40:41]
	v_add_f64 v[46:47], v[46:47], v[50:51]
	v_mul_f64 v[54:55], v[238:239], s[12:13]
	v_fma_f64 v[252:253], v[188:189], s[18:19], -v[62:63]
	v_add_f64 v[56:57], v[56:57], v[220:221]
	v_add_f64 v[28:29], v[34:35], v[28:29]
	v_mul_f64 v[36:37], v[8:9], s[38:39]
	v_fma_f64 v[34:35], s[8:9], v[234:235], v[38:39]
	v_add_f64 v[42:43], v[42:43], v[46:47]
	v_mul_f64 v[46:47], v[244:245], s[14:15]
	v_fma_f64 v[60:61], v[208:209], s[2:3], -v[54:55]
	v_add_f64 v[56:57], v[252:253], v[56:57]
	v_fma_f64 v[32:33], s[22:23], v[240:241], v[36:37]
	v_add_f64 v[34:35], v[34:35], v[42:43]
	v_mul_f64 v[42:43], v[248:249], s[38:39]
	v_fma_f64 v[50:51], v[216:217], s[8:9], -v[46:47]
	v_add_f64 v[56:57], v[60:61], v[56:57]
	v_add_f64 v[34:35], v[32:33], v[34:35]
	v_fma_f64 v[32:33], v[230:231], s[22:23], -v[42:43]
	v_add_f64 v[50:51], v[50:51], v[56:57]
	v_add_f64 v[32:33], v[32:33], v[50:51]
	v_fma_f64 v[50:51], v[206:207], s[16:17], -v[52:53]
	v_fma_f64 v[48:49], v[190:191], s[26:27], -v[48:49]
	v_add_f64 v[50:51], v[194:195], v[50:51]
	v_fma_f64 v[44:45], v[214:215], s[18:19], -v[44:45]
	v_add_f64 v[48:49], v[48:49], v[50:51]
	;; [unrolled: 2-line block ×5, first 2 shown]
	v_fmac_f64_e32 v[58:59], s[16:17], v[204:205]
	v_add_f64 v[38:39], v[36:37], v[38:39]
	v_fmac_f64_e32 v[2:3], s[26:27], v[154:155]
	v_add_f64 v[36:37], v[192:193], v[58:59]
	;; [unrolled: 2-line block ×3, first 2 shown]
	v_mul_f64 v[56:57], v[228:229], s[14:15]
	v_fmac_f64_e32 v[54:55], s[2:3], v[208:209]
	v_add_f64 v[2:3], v[62:63], v[2:3]
	v_mul_f64 v[52:53], v[236:237], s[24:25]
	v_fma_f64 v[58:59], s[8:9], v[206:207], v[56:57]
	v_fmac_f64_e32 v[46:47], s[8:9], v[216:217]
	v_add_f64 v[2:3], v[54:55], v[2:3]
	v_mul_f64 v[48:49], v[242:243], s[34:35]
	v_fma_f64 v[54:55], s[18:19], v[190:191], v[52:53]
	v_add_f64 v[58:59], v[194:195], v[58:59]
	v_mul_f64 v[212:213], v[212:213], s[14:15]
	v_fmac_f64_e32 v[42:43], s[22:23], v[230:231]
	v_add_f64 v[2:3], v[46:47], v[2:3]
	v_mul_f64 v[46:47], v[246:247], s[28:29]
	v_fma_f64 v[50:51], s[26:27], v[214:215], v[48:49]
	v_add_f64 v[54:55], v[54:55], v[58:59]
	v_mul_f64 v[62:63], v[232:233], s[34:35]
	v_mul_f64 v[224:225], v[224:225], s[24:25]
	v_fma_f64 v[232:233], v[204:205], s[8:9], -v[212:213]
	v_add_f64 v[36:37], v[42:43], v[2:3]
	v_mul_f64 v[44:45], v[250:251], s[20:21]
	v_fma_f64 v[42:43], s[22:23], v[226:227], v[46:47]
	v_add_f64 v[50:51], v[50:51], v[54:55]
	v_fma_f64 v[228:229], v[154:155], s[18:19], -v[224:225]
	v_add_f64 v[232:233], v[192:193], v[232:233]
	v_mul_f64 v[2:3], v[8:9], s[12:13]
	v_fma_f64 v[40:41], s[16:17], v[234:235], v[44:45]
	v_add_f64 v[42:43], v[42:43], v[50:51]
	v_mul_f64 v[58:59], v[238:239], s[28:29]
	v_fma_f64 v[220:221], v[188:189], s[26:27], -v[62:63]
	v_add_f64 v[228:229], v[228:229], v[232:233]
	v_fma_f64 v[8:9], s[2:3], v[240:241], v[2:3]
	v_add_f64 v[40:41], v[40:41], v[42:43]
	v_mul_f64 v[50:51], v[244:245], s[20:21]
	v_fma_f64 v[60:61], v[208:209], s[22:23], -v[58:59]
	v_add_f64 v[220:221], v[220:221], v[228:229]
	v_add_f64 v[42:43], v[8:9], v[40:41]
	v_mul_f64 v[8:9], v[248:249], s[12:13]
	v_fma_f64 v[54:55], v[216:217], s[16:17], -v[50:51]
	v_add_f64 v[60:61], v[60:61], v[220:221]
	v_fma_f64 v[40:41], v[230:231], s[2:3], -v[8:9]
	v_add_f64 v[54:55], v[54:55], v[60:61]
	v_add_f64 v[40:41], v[40:41], v[54:55]
	v_fma_f64 v[54:55], v[206:207], s[8:9], -v[56:57]
	v_fma_f64 v[52:53], v[190:191], s[18:19], -v[52:53]
	v_add_f64 v[54:55], v[194:195], v[54:55]
	v_fma_f64 v[48:49], v[214:215], s[26:27], -v[48:49]
	v_add_f64 v[52:53], v[52:53], v[54:55]
	;; [unrolled: 2-line block ×5, first 2 shown]
	v_fmac_f64_e32 v[212:213], s[8:9], v[204:205]
	v_mul_f64 v[12:13], v[206:207], s[2:3]
	v_add_f64 v[46:47], v[2:3], v[44:45]
	v_fmac_f64_e32 v[224:225], s[18:19], v[154:155]
	v_add_f64 v[2:3], v[192:193], v[212:213]
	v_mul_f64 v[16:17], v[190:191], s[8:9]
	v_fmac_f64_e32 v[62:63], s[26:27], v[188:189]
	v_add_f64 v[2:3], v[224:225], v[2:3]
	v_add_f64 v[12:13], v[152:153], v[12:13]
	v_mul_f64 v[18:19], v[214:215], s[16:17]
	v_fmac_f64_e32 v[58:59], s[22:23], v[208:209]
	v_add_f64 v[2:3], v[62:63], v[2:3]
	v_add_f64 v[16:17], v[150:151], v[16:17]
	;; [unrolled: 1-line block ×3, first 2 shown]
	v_mul_f64 v[20:21], v[226:227], s[18:19]
	v_fmac_f64_e32 v[50:51], s[16:17], v[216:217]
	v_add_f64 v[2:3], v[58:59], v[2:3]
	v_add_f64 v[18:19], v[146:147], v[18:19]
	;; [unrolled: 1-line block ×3, first 2 shown]
	v_mul_f64 v[4:5], v[204:205], s[2:3]
	v_mul_f64 v[22:23], v[234:235], s[22:23]
	v_fmac_f64_e32 v[8:9], s[2:3], v[230:231]
	v_add_f64 v[2:3], v[50:51], v[2:3]
	v_add_f64 v[20:21], v[142:143], v[20:21]
	;; [unrolled: 1-line block ×3, first 2 shown]
	v_accvgpr_write_b32 a75, v5
	v_mul_f64 v[24:25], v[240:241], s[26:27]
	v_add_f64 v[44:45], v[8:9], v[2:3]
	v_add_f64 v[8:9], v[210:211], v[22:23]
	;; [unrolled: 1-line block ×3, first 2 shown]
	v_accvgpr_write_b32 a74, v4
	v_mul_f64 v[14:15], v[230:231], s[26:27]
	v_add_f64 v[2:3], v[218:219], v[24:25]
	v_add_f64 v[8:9], v[8:9], v[12:13]
	v_add_f64 v[8:9], v[2:3], v[8:9]
	v_add_f64 v[2:3], v[14:15], -v[138:139]
	v_accvgpr_read_b32 v14, a74
	v_accvgpr_read_b32 v15, a75
	v_mul_f64 v[222:223], v[154:155], s[8:9]
	v_add_f64 v[0:1], v[14:15], -v[0:1]
	v_mul_f64 v[4:5], v[188:189], s[16:17]
	v_add_f64 v[12:13], v[222:223], -v[148:149]
	v_add_f64 v[0:1], v[192:193], v[0:1]
	v_mul_f64 v[6:7], v[208:209], s[18:19]
	v_add_f64 v[4:5], v[4:5], -v[144:145]
	v_add_f64 v[0:1], v[12:13], v[0:1]
	;; [unrolled: 3-line block ×3, first 2 shown]
	v_add_f64 v[10:11], v[10:11], -v[136:137]
	v_add_f64 v[0:1], v[6:7], v[0:1]
	v_accvgpr_read_b32 v253, a1
	v_accvgpr_read_b32 v56, a56
	;; [unrolled: 1-line block ×3, first 2 shown]
	v_add_f64 v[0:1], v[10:11], v[0:1]
	v_accvgpr_read_b32 v252, a0
	v_accvgpr_read_b32 v55, a72
	;; [unrolled: 1-line block ×9, first 2 shown]
	v_add_f64 v[6:7], v[2:3], v[0:1]
	v_accvgpr_read_b32 v2, a57
	v_lshl_add_u32 v0, v27, 4, v56
	ds_write_b128 v0, v[200:203]
	ds_write_b128 v0, v[92:95] offset:16
	ds_write_b128 v0, v[44:47] offset:32
	ds_write_b128 v0, v[36:39] offset:48
	ds_write_b128 v0, v[28:31] offset:64
	ds_write_b128 v0, v[120:123] offset:80
	ds_write_b128 v0, v[100:103] offset:96
	ds_write_b128 v0, v[96:99] offset:112
	ds_write_b128 v0, v[108:111] offset:128
	ds_write_b128 v0, v[128:131] offset:144
	ds_write_b128 v0, v[32:35] offset:160
	ds_write_b128 v0, v[40:43] offset:176
	ds_write_b128 v0, v[6:9] offset:192
.LBB0_17:
	s_or_b64 exec, exec, s[44:45]
	s_waitcnt lgkmcnt(0)
	s_barrier
	ds_read_b128 v[120:123], v255
	ds_read_b128 v[108:111], v255 offset:624
	ds_read_b128 v[192:195], v255 offset:2912
	;; [unrolled: 1-line block ×11, first 2 shown]
	s_and_saveexec_b64 s[2:3], s[0:1]
	s_cbranch_execz .LBB0_19
; %bb.18:
	ds_read_b128 v[196:199], v255 offset:2496
	ds_read_b128 v[200:203], v255 offset:5408
	;; [unrolled: 1-line block ×3, first 2 shown]
.LBB0_19:
	s_or_b64 exec, exec, s[2:3]
	v_accvgpr_read_b32 v8, a62
	s_waitcnt lgkmcnt(9)
	v_mul_f64 v[6:7], v[66:67], v[192:193]
	v_accvgpr_read_b32 v10, a64
	v_accvgpr_read_b32 v11, a65
	v_fma_f64 v[12:13], v[64:65], v[194:195], -v[6:7]
	v_accvgpr_read_b32 v9, a63
	s_waitcnt lgkmcnt(7)
	v_mul_f64 v[6:7], v[10:11], v[188:189]
	v_fma_f64 v[16:17], v[8:9], v[190:191], -v[6:7]
	v_mul_f64 v[6:7], v[74:75], v[152:153]
	v_fma_f64 v[22:23], v[72:73], v[154:155], -v[6:7]
	s_waitcnt lgkmcnt(6)
	v_mul_f64 v[6:7], v[70:71], v[144:145]
	v_fma_f64 v[28:29], v[68:69], v[146:147], -v[6:7]
	s_waitcnt lgkmcnt(3)
	v_mul_f64 v[6:7], v[82:83], v[148:149]
	v_mul_f64 v[0:1], v[66:67], v[194:195]
	;; [unrolled: 1-line block ×3, first 2 shown]
	v_fma_f64 v[32:33], v[80:81], v[150:151], -v[6:7]
	s_waitcnt lgkmcnt(1)
	v_mul_f64 v[6:7], v[78:79], v[140:141]
	v_fmac_f64_e32 v[0:1], v[64:65], v[192:193]
	v_fmac_f64_e32 v[14:15], v[8:9], v[188:189]
	v_fma_f64 v[36:37], v[76:77], v[142:143], -v[6:7]
	v_mul_f64 v[6:7], v[90:91], v[136:137]
	v_fma_f64 v[40:41], v[88:89], v[138:139], -v[6:7]
	s_waitcnt lgkmcnt(0)
	v_mul_f64 v[6:7], v[86:87], v[128:129]
	v_add_f64 v[8:9], v[0:1], v[14:15]
	s_mov_b32 s2, 0xe8584caa
	v_fma_f64 v[44:45], v[84:85], v[130:131], -v[6:7]
	v_add_f64 v[6:7], v[120:121], v[0:1]
	v_fmac_f64_e32 v[120:121], -0.5, v[8:9]
	v_add_f64 v[8:9], v[12:13], -v[16:17]
	s_mov_b32 s3, 0xbfebb67a
	s_mov_b32 s9, 0x3febb67a
	;; [unrolled: 1-line block ×3, first 2 shown]
	v_mul_f64 v[20:21], v[74:75], v[154:155]
	v_fma_f64 v[10:11], s[2:3], v[8:9], v[120:121]
	v_fmac_f64_e32 v[120:121], s[8:9], v[8:9]
	v_add_f64 v[8:9], v[122:123], v[12:13]
	v_add_f64 v[12:13], v[12:13], v[16:17]
	v_fmac_f64_e32 v[20:21], v[72:73], v[152:153]
	v_mul_f64 v[24:25], v[70:71], v[146:147]
	v_fmac_f64_e32 v[122:123], -0.5, v[12:13]
	v_add_f64 v[0:1], v[0:1], -v[14:15]
	v_fmac_f64_e32 v[24:25], v[68:69], v[144:145]
	v_fma_f64 v[12:13], s[8:9], v[0:1], v[122:123]
	v_fmac_f64_e32 v[122:123], s[2:3], v[0:1]
	v_add_f64 v[0:1], v[108:109], v[20:21]
	v_add_f64 v[6:7], v[6:7], v[14:15]
	;; [unrolled: 1-line block ×4, first 2 shown]
	v_fmac_f64_e32 v[108:109], -0.5, v[0:1]
	v_add_f64 v[0:1], v[22:23], -v[28:29]
	v_fma_f64 v[18:19], s[2:3], v[0:1], v[108:109]
	v_fmac_f64_e32 v[108:109], s[8:9], v[0:1]
	v_add_f64 v[0:1], v[110:111], v[22:23]
	v_mul_f64 v[30:31], v[82:83], v[150:151]
	v_add_f64 v[8:9], v[8:9], v[16:17]
	v_add_f64 v[16:17], v[0:1], v[28:29]
	;; [unrolled: 1-line block ×3, first 2 shown]
	v_fmac_f64_e32 v[30:31], v[80:81], v[148:149]
	v_mul_f64 v[34:35], v[78:79], v[142:143]
	v_fmac_f64_e32 v[110:111], -0.5, v[0:1]
	v_add_f64 v[0:1], v[20:21], -v[24:25]
	v_fmac_f64_e32 v[34:35], v[76:77], v[140:141]
	v_fma_f64 v[20:21], s[8:9], v[0:1], v[110:111]
	v_fmac_f64_e32 v[110:111], s[2:3], v[0:1]
	v_add_f64 v[0:1], v[100:101], v[30:31]
	v_add_f64 v[22:23], v[0:1], v[34:35]
	;; [unrolled: 1-line block ×3, first 2 shown]
	v_fmac_f64_e32 v[100:101], -0.5, v[0:1]
	v_add_f64 v[0:1], v[32:33], -v[36:37]
	v_fma_f64 v[28:29], s[2:3], v[0:1], v[100:101]
	v_fmac_f64_e32 v[100:101], s[8:9], v[0:1]
	v_add_f64 v[0:1], v[102:103], v[32:33]
	v_mul_f64 v[38:39], v[90:91], v[138:139]
	v_add_f64 v[24:25], v[0:1], v[36:37]
	v_add_f64 v[0:1], v[32:33], v[36:37]
	v_fmac_f64_e32 v[38:39], v[88:89], v[136:137]
	v_mul_f64 v[42:43], v[86:87], v[130:131]
	v_fmac_f64_e32 v[102:103], -0.5, v[0:1]
	v_add_f64 v[0:1], v[30:31], -v[34:35]
	v_fmac_f64_e32 v[42:43], v[84:85], v[128:129]
	v_fma_f64 v[30:31], s[8:9], v[0:1], v[102:103]
	v_fmac_f64_e32 v[102:103], s[2:3], v[0:1]
	v_add_f64 v[0:1], v[96:97], v[38:39]
	v_add_f64 v[32:33], v[0:1], v[42:43]
	;; [unrolled: 1-line block ×3, first 2 shown]
	v_fmac_f64_e32 v[96:97], -0.5, v[0:1]
	v_add_f64 v[0:1], v[40:41], -v[44:45]
	v_fma_f64 v[36:37], s[2:3], v[0:1], v[96:97]
	v_fmac_f64_e32 v[96:97], s[8:9], v[0:1]
	v_add_f64 v[0:1], v[98:99], v[40:41]
	v_add_f64 v[34:35], v[0:1], v[44:45]
	;; [unrolled: 1-line block ×3, first 2 shown]
	v_add_u32_e32 v4, 0xc30, v255
	v_add_u32_e32 v3, 0xea0, v255
	v_fmac_f64_e32 v[98:99], -0.5, v[0:1]
	v_add_f64 v[0:1], v[38:39], -v[42:43]
	v_fma_f64 v[38:39], s[8:9], v[0:1], v[98:99]
	v_fmac_f64_e32 v[98:99], s[2:3], v[0:1]
	s_barrier
	ds_write_b128 v53, v[6:9]
	ds_write_b128 v53, v[10:13] offset:208
	ds_write_b128 v53, v[120:123] offset:416
	ds_write_b128 v54, v[14:17]
	ds_write_b128 v54, v[18:21] offset:208
	ds_write_b128 v54, v[108:111] offset:416
	;; [unrolled: 3-line block ×4, first 2 shown]
	s_and_saveexec_b64 s[12:13], s[0:1]
	s_cbranch_execz .LBB0_21
; %bb.20:
	v_accvgpr_read_b32 v12, a66
	v_accvgpr_read_b32 v14, a68
	;; [unrolled: 1-line block ×4, first 2 shown]
	v_mul_f64 v[0:1], v[14:15], v[200:201]
	v_mul_f64 v[6:7], v[62:63], v[92:93]
	v_fma_f64 v[0:1], v[12:13], v[202:203], -v[0:1]
	v_fma_f64 v[10:11], v[60:61], v[94:95], -v[6:7]
	v_mul_f64 v[14:15], v[14:15], v[202:203]
	v_mul_f64 v[18:19], v[62:63], v[94:95]
	v_add_f64 v[6:7], v[0:1], v[10:11]
	v_fmac_f64_e32 v[14:15], v[12:13], v[200:201]
	v_fmac_f64_e32 v[18:19], v[60:61], v[92:93]
	v_fma_f64 v[8:9], -0.5, v[6:7], v[198:199]
	v_add_f64 v[6:7], v[14:15], -v[18:19]
	v_fma_f64 v[12:13], s[2:3], v[6:7], v[8:9]
	v_fmac_f64_e32 v[8:9], s[8:9], v[6:7]
	v_add_f64 v[6:7], v[198:199], v[0:1]
	v_add_f64 v[16:17], v[6:7], v[10:11]
	;; [unrolled: 1-line block ×3, first 2 shown]
	v_fma_f64 v[6:7], -0.5, v[6:7], v[196:197]
	v_add_f64 v[0:1], v[0:1], -v[10:11]
	v_fma_f64 v[10:11], s[8:9], v[0:1], v[6:7]
	v_fmac_f64_e32 v[6:7], s[2:3], v[0:1]
	v_add_f64 v[0:1], v[196:197], v[14:15]
	v_add_f64 v[14:15], v[0:1], v[18:19]
	v_add_u32_sdwa v0, v2, v52 dst_sel:DWORD dst_unused:UNUSED_PAD src0_sel:DWORD src1_sel:BYTE_0
	v_lshl_add_u32 v0, v0, 4, v56
	ds_write_b128 v0, v[14:17]
	ds_write_b128 v0, v[6:9] offset:208
	ds_write_b128 v0, v[10:13] offset:416
.LBB0_21:
	s_or_b64 exec, exec, s[12:13]
	s_waitcnt lgkmcnt(0)
	s_barrier
	ds_read_b128 v[6:9], v255
	ds_read_b128 v[52:55], v255 offset:624
	ds_read_b128 v[10:13], v255 offset:1248
	;; [unrolled: 1-line block ×13, first 2 shown]
	s_waitcnt lgkmcnt(11)
	v_mul_f64 v[68:69], v[134:135], v[12:13]
	v_fmac_f64_e32 v[68:69], v[132:133], v[10:11]
	v_mul_f64 v[10:11], v[134:135], v[10:11]
	v_fma_f64 v[10:11], v[132:133], v[12:13], -v[10:11]
	s_waitcnt lgkmcnt(9)
	v_mul_f64 v[12:13], v[118:119], v[20:21]
	v_fmac_f64_e32 v[12:13], v[116:117], v[18:19]
	v_mul_f64 v[18:19], v[118:119], v[18:19]
	v_fma_f64 v[18:19], v[116:117], v[20:21], -v[18:19]
	s_waitcnt lgkmcnt(7)
	v_mul_f64 v[20:21], v[114:115], v[30:31]
	v_fmac_f64_e32 v[20:21], v[112:113], v[28:29]
	v_mul_f64 v[28:29], v[114:115], v[28:29]
	v_mul_f64 v[70:71], v[134:135], v[16:17]
	v_fma_f64 v[28:29], v[112:113], v[30:31], -v[28:29]
	s_waitcnt lgkmcnt(5)
	v_mul_f64 v[30:31], v[106:107], v[38:39]
	v_fmac_f64_e32 v[70:71], v[132:133], v[14:15]
	v_mul_f64 v[14:15], v[134:135], v[14:15]
	v_fmac_f64_e32 v[30:31], v[104:105], v[36:37]
	v_mul_f64 v[36:37], v[106:107], v[36:37]
	v_fma_f64 v[72:73], v[132:133], v[16:17], -v[14:15]
	v_mul_f64 v[14:15], v[118:119], v[22:23]
	v_fma_f64 v[36:37], v[104:105], v[38:39], -v[36:37]
	s_waitcnt lgkmcnt(3)
	v_mul_f64 v[38:39], v[158:159], v[46:47]
	v_fma_f64 v[76:77], v[116:117], v[24:25], -v[14:15]
	v_mul_f64 v[78:79], v[114:115], v[34:35]
	v_mul_f64 v[14:15], v[114:115], v[32:33]
	v_fmac_f64_e32 v[38:39], v[156:157], v[44:45]
	v_mul_f64 v[44:45], v[158:159], v[44:45]
	v_fmac_f64_e32 v[78:79], v[112:113], v[32:33]
	v_fma_f64 v[32:33], v[112:113], v[34:35], -v[14:15]
	v_mul_f64 v[34:35], v[106:107], v[42:43]
	v_mul_f64 v[14:15], v[106:107], v[40:41]
	v_fma_f64 v[44:45], v[156:157], v[46:47], -v[44:45]
	s_waitcnt lgkmcnt(1)
	v_mul_f64 v[46:47], v[126:127], v[58:59]
	v_fmac_f64_e32 v[34:35], v[104:105], v[40:41]
	v_fma_f64 v[40:41], v[104:105], v[42:43], -v[14:15]
	v_mul_f64 v[42:43], v[158:159], v[50:51]
	v_mul_f64 v[14:15], v[158:159], v[48:49]
	v_fmac_f64_e32 v[46:47], v[124:125], v[56:57]
	v_mul_f64 v[56:57], v[126:127], v[56:57]
	v_fmac_f64_e32 v[42:43], v[156:157], v[48:49]
	v_fma_f64 v[48:49], v[156:157], v[50:51], -v[14:15]
	s_waitcnt lgkmcnt(0)
	v_mul_f64 v[50:51], v[126:127], v[66:67]
	v_mul_f64 v[14:15], v[126:127], v[64:65]
	v_fma_f64 v[56:57], v[124:125], v[58:59], -v[56:57]
	v_mul_f64 v[74:75], v[118:119], v[24:25]
	v_fmac_f64_e32 v[50:51], v[124:125], v[64:65]
	v_fma_f64 v[64:65], v[124:125], v[66:67], -v[14:15]
	v_add_f64 v[14:15], v[68:69], v[46:47]
	v_add_f64 v[24:25], v[12:13], v[38:39]
	v_fmac_f64_e32 v[74:75], v[116:117], v[22:23]
	v_add_f64 v[16:17], v[10:11], v[56:57]
	v_add_f64 v[22:23], v[68:69], -v[46:47]
	v_add_f64 v[46:47], v[18:19], v[44:45]
	v_add_f64 v[12:13], v[12:13], -v[38:39]
	v_add_f64 v[38:39], v[20:21], v[30:31]
	v_add_f64 v[20:21], v[30:31], -v[20:21]
	v_add_f64 v[30:31], v[24:25], v[14:15]
	v_add_f64 v[10:11], v[10:11], -v[56:57]
	v_add_f64 v[18:19], v[18:19], -v[44:45]
	v_add_f64 v[44:45], v[28:29], v[36:37]
	v_add_f64 v[28:29], v[36:37], -v[28:29]
	v_add_f64 v[36:37], v[46:47], v[16:17]
	v_add_f64 v[56:57], v[20:21], v[12:13]
	;; [unrolled: 1-line block ×3, first 2 shown]
	v_mov_b32_e32 v0, s10
	v_mov_b32_e32 v1, s11
	v_mad_u64_u32 v[60:61], s[0:1], s6, v254, 0
	v_add_f64 v[58:59], v[28:29], v[18:19]
	v_add_f64 v[80:81], v[20:21], -v[12:13]
	v_add_f64 v[20:21], v[22:23], -v[20:21]
	;; [unrolled: 1-line block ×3, first 2 shown]
	v_add_f64 v[36:37], v[44:45], v[36:37]
	v_add_f64 v[22:23], v[56:57], v[22:23]
	;; [unrolled: 1-line block ×3, first 2 shown]
	s_mov_b32 s2, 0x37e14327
	s_mov_b32 s10, 0xe976ee23
	;; [unrolled: 1-line block ×4, first 2 shown]
	v_add_f64 v[66:67], v[24:25], -v[14:15]
	v_add_f64 v[14:15], v[14:15], -v[38:39]
	;; [unrolled: 1-line block ×5, first 2 shown]
	v_add_f64 v[10:11], v[58:59], v[10:11]
	v_add_f64 v[58:59], v[8:9], v[36:37]
	s_mov_b32 s3, 0x3fe948f6
	s_mov_b32 s0, 0x36b3c0b5
	;; [unrolled: 1-line block ×5, first 2 shown]
	v_mov_b64_e32 v[84:85], v[56:57]
	s_mov_b32 s14, 0x5476071b
	s_mov_b32 s18, 0xb247c609
	v_add_f64 v[68:69], v[46:47], -v[16:17]
	v_add_f64 v[16:17], v[16:17], -v[44:45]
	;; [unrolled: 1-line block ×4, first 2 shown]
	v_mul_f64 v[6:7], v[14:15], s[2:3]
	s_mov_b32 s1, 0x3fac98ee
	v_mul_f64 v[44:45], v[82:83], s[10:11]
	v_mul_f64 v[82:83], v[18:19], s[8:9]
	v_fmac_f64_e32 v[84:85], s[12:13], v[30:31]
	v_mov_b64_e32 v[30:31], v[58:59]
	s_mov_b32 s15, 0x3fe77f67
	s_mov_b32 s17, 0xbfe77f67
	;; [unrolled: 1-line block ×7, first 2 shown]
	v_mul_f64 v[8:9], v[16:17], s[2:3]
	v_mul_f64 v[14:15], v[24:25], s[0:1]
	;; [unrolled: 1-line block ×5, first 2 shown]
	v_fmac_f64_e32 v[30:31], s[12:13], v[36:37]
	v_fma_f64 v[36:37], v[66:67], s[16:17], -v[6:7]
	v_fmac_f64_e32 v[6:7], s[0:1], v[24:25]
	v_fma_f64 v[18:19], v[18:19], s[8:9], -v[44:45]
	;; [unrolled: 2-line block ×3, first 2 shown]
	s_mov_b32 s21, 0xbfdc38aa
	v_fma_f64 v[14:15], v[66:67], s[14:15], -v[14:15]
	v_fma_f64 v[16:17], v[68:69], s[14:15], -v[16:17]
	v_fma_f64 v[24:25], v[68:69], s[16:17], -v[8:9]
	v_fmac_f64_e32 v[8:9], s[0:1], v[46:47]
	v_fma_f64 v[46:47], v[12:13], s[8:9], -v[38:39]
	v_fmac_f64_e32 v[38:39], s[18:19], v[20:21]
	v_fma_f64 v[66:67], v[20:21], s[22:23], -v[80:81]
	v_add_f64 v[68:69], v[6:7], v[84:85]
	v_add_f64 v[36:37], v[36:37], v[84:85]
	v_fmac_f64_e32 v[44:45], s[20:21], v[10:11]
	v_fmac_f64_e32 v[28:29], s[20:21], v[10:11]
	v_add_f64 v[80:81], v[8:9], v[30:31]
	v_add_f64 v[20:21], v[14:15], v[84:85]
	;; [unrolled: 1-line block ×4, first 2 shown]
	v_fmac_f64_e32 v[38:39], s[20:21], v[22:23]
	v_fmac_f64_e32 v[46:47], s[20:21], v[22:23]
	;; [unrolled: 1-line block ×4, first 2 shown]
	v_add_f64 v[6:7], v[44:45], v[68:69]
	v_add_f64 v[10:11], v[28:29], v[36:37]
	v_add_f64 v[22:23], v[36:37], -v[28:29]
	v_add_f64 v[28:29], v[68:69], -v[44:45]
	v_add_f64 v[36:37], v[70:71], v[50:51]
	v_add_f64 v[44:45], v[70:71], -v[50:51]
	v_add_f64 v[50:51], v[74:75], v[42:43]
	v_add_f64 v[8:9], v[80:81], -v[38:39]
	v_add_f64 v[12:13], v[24:25], -v[66:67]
	;; [unrolled: 1-line block ×3, first 2 shown]
	v_add_f64 v[16:17], v[46:47], v[82:83]
	v_add_f64 v[18:19], v[18:19], v[20:21]
	v_add_f64 v[20:21], v[82:83], -v[46:47]
	v_add_f64 v[24:25], v[66:67], v[24:25]
	v_add_f64 v[30:31], v[38:39], v[80:81]
	v_add_f64 v[38:39], v[72:73], v[64:65]
	v_add_f64 v[46:47], v[72:73], -v[64:65]
	v_add_f64 v[64:65], v[76:77], v[48:49]
	;; [unrolled: 4-line block ×3, first 2 shown]
	v_add_f64 v[42:43], v[74:75], -v[42:43]
	v_add_f64 v[48:49], v[76:77], -v[48:49]
	;; [unrolled: 1-line block ×3, first 2 shown]
	v_add_f64 v[70:71], v[64:65], v[38:39]
	v_add_f64 v[40:41], v[66:67], v[40:41]
	v_add_f64 v[72:73], v[50:51], -v[36:37]
	v_add_f64 v[36:37], v[36:37], -v[66:67]
	;; [unrolled: 1-line block ×3, first 2 shown]
	v_add_f64 v[78:79], v[32:33], v[48:49]
	v_add_f64 v[80:81], v[34:35], -v[42:43]
	v_add_f64 v[82:83], v[32:33], -v[48:49]
	;; [unrolled: 1-line block ×3, first 2 shown]
	v_add_f64 v[66:67], v[68:69], v[70:71]
	v_add_f64 v[32:33], v[52:53], v[40:41]
	v_add_f64 v[74:75], v[64:65], -v[38:39]
	v_add_f64 v[38:39], v[38:39], -v[68:69]
	;; [unrolled: 1-line block ×3, first 2 shown]
	v_add_f64 v[76:77], v[34:35], v[42:43]
	v_add_f64 v[84:85], v[44:45], -v[34:35]
	v_add_f64 v[42:43], v[42:43], -v[44:45]
	;; [unrolled: 1-line block ×3, first 2 shown]
	v_add_f64 v[34:35], v[54:55], v[66:67]
	v_mul_f64 v[68:69], v[80:81], s[10:11]
	v_mov_b64_e32 v[80:81], v[32:33]
	v_add_f64 v[44:45], v[76:77], v[44:45]
	v_add_f64 v[46:47], v[78:79], v[46:47]
	v_mul_f64 v[36:37], v[36:37], s[2:3]
	v_mul_f64 v[38:39], v[38:39], s[2:3]
	;; [unrolled: 1-line block ×7, first 2 shown]
	v_fmac_f64_e32 v[80:81], s[12:13], v[40:41]
	v_mov_b64_e32 v[40:41], v[34:35]
	v_fmac_f64_e32 v[40:41], s[12:13], v[66:67]
	v_fma_f64 v[50:51], s[0:1], v[50:51], v[36:37]
	v_fma_f64 v[52:53], v[72:73], s[14:15], -v[52:53]
	v_fma_f64 v[54:55], v[74:75], s[14:15], -v[54:55]
	;; [unrolled: 1-line block ×4, first 2 shown]
	v_fmac_f64_e32 v[38:39], s[0:1], v[64:65]
	v_fma_f64 v[72:73], s[18:19], v[84:85], v[68:69]
	v_fma_f64 v[64:65], v[42:43], s[8:9], -v[68:69]
	v_fma_f64 v[48:49], v[48:49], s[8:9], -v[70:71]
	v_fmac_f64_e32 v[70:71], s[18:19], v[86:87]
	v_fma_f64 v[68:69], v[84:85], s[22:23], -v[76:77]
	v_fma_f64 v[74:75], v[86:87], s[22:23], -v[78:79]
	v_add_f64 v[76:77], v[50:51], v[80:81]
	v_add_f64 v[78:79], v[38:39], v[40:41]
	;; [unrolled: 1-line block ×6, first 2 shown]
	v_fmac_f64_e32 v[72:73], s[20:21], v[44:45]
	v_fmac_f64_e32 v[70:71], s[20:21], v[46:47]
	;; [unrolled: 1-line block ×6, first 2 shown]
	v_add_f64 v[36:37], v[70:71], v[76:77]
	v_add_f64 v[38:39], v[78:79], -v[72:73]
	v_add_f64 v[40:41], v[74:75], v[54:55]
	v_add_f64 v[42:43], v[66:67], -v[68:69]
	v_add_f64 v[44:45], v[50:51], -v[48:49]
	v_add_f64 v[46:47], v[64:65], v[52:53]
	v_add_f64 v[48:49], v[48:49], v[50:51]
	v_add_f64 v[50:51], v[52:53], -v[64:65]
	v_add_f64 v[52:53], v[54:55], -v[74:75]
	v_add_f64 v[54:55], v[68:69], v[66:67]
	v_add_f64 v[64:65], v[76:77], -v[70:71]
	v_add_f64 v[66:67], v[72:73], v[78:79]
	s_barrier
	ds_write_b128 v255, v[56:59]
	ds_write_b128 v255, v[6:9] offset:624
	ds_write_b128 v255, v[10:13] offset:1248
	;; [unrolled: 1-line block ×13, first 2 shown]
	s_waitcnt lgkmcnt(0)
	s_barrier
	ds_read_b128 v[6:9], v255 offset:4368
	ds_read_b128 v[10:13], v255
	ds_read_b128 v[14:17], v255 offset:624
	ds_read_b128 v[18:21], v255 offset:4992
	;; [unrolled: 1-line block ×12, first 2 shown]
	s_waitcnt lgkmcnt(13)
	v_mul_f64 v[68:69], v[162:163], v[8:9]
	v_fmac_f64_e32 v[68:69], v[160:161], v[6:7]
	v_mul_f64 v[6:7], v[162:163], v[6:7]
	v_fma_f64 v[8:9], v[160:161], v[8:9], -v[6:7]
	s_waitcnt lgkmcnt(10)
	v_mul_f64 v[6:7], v[166:167], v[18:19]
	v_mul_f64 v[70:71], v[166:167], v[20:21]
	v_fma_f64 v[20:21], v[164:165], v[20:21], -v[6:7]
	s_waitcnt lgkmcnt(9)
	v_mul_f64 v[6:7], v[170:171], v[22:23]
	;; [unrolled: 4-line block ×6, first 2 shown]
	v_mul_f64 v[6:7], v[186:187], v[64:65]
	v_fmac_f64_e32 v[70:71], v[164:165], v[18:19]
	v_fmac_f64_e32 v[72:73], v[168:169], v[22:23]
	;; [unrolled: 1-line block ×6, first 2 shown]
	v_fma_f64 v[66:67], v[184:185], v[66:67], -v[6:7]
	v_add_f64 v[6:7], v[10:11], -v[68:69]
	v_add_f64 v[8:9], v[12:13], -v[8:9]
	v_fma_f64 v[10:11], v[10:11], 2.0, -v[6:7]
	v_fma_f64 v[12:13], v[12:13], 2.0, -v[8:9]
	v_add_f64 v[18:19], v[14:15], -v[70:71]
	v_add_f64 v[20:21], v[16:17], -v[20:21]
	;; [unrolled: 1-line block ×12, first 2 shown]
	v_fma_f64 v[14:15], v[14:15], 2.0, -v[18:19]
	v_fma_f64 v[16:17], v[16:17], 2.0, -v[20:21]
	v_fma_f64 v[28:29], v[28:29], 2.0, -v[22:23]
	v_fma_f64 v[30:31], v[30:31], 2.0, -v[24:25]
	v_fma_f64 v[32:33], v[32:33], 2.0, -v[36:37]
	v_fma_f64 v[34:35], v[34:35], 2.0, -v[38:39]
	v_fma_f64 v[44:45], v[44:45], 2.0, -v[40:41]
	v_fma_f64 v[46:47], v[46:47], 2.0, -v[42:43]
	v_fma_f64 v[48:49], v[48:49], 2.0, -v[56:57]
	v_fma_f64 v[50:51], v[50:51], 2.0, -v[58:59]
	v_fma_f64 v[52:53], v[52:53], 2.0, -v[64:65]
	v_fma_f64 v[54:55], v[54:55], 2.0, -v[66:67]
	ds_write_b128 v255, v[10:13]
	ds_write_b128 v26, v[6:9] offset:4368
	ds_write_b128 v26, v[14:17] offset:624
	;; [unrolled: 1-line block ×13, first 2 shown]
	s_waitcnt lgkmcnt(0)
	s_barrier
	ds_read_b128 v[4:7], v255
	ds_read_b128 v[8:11], v255 offset:672
	v_mov_b32_e32 v62, v61
	v_accvgpr_read_b32 v17, a7
	v_mad_u64_u32 v[2:3], s[0:1], s7, v254, v[62:63]
	v_accvgpr_read_b32 v16, a6
	v_mov_b32_e32 v61, v2
	v_accvgpr_read_b32 v15, a5
	v_accvgpr_read_b32 v14, a4
	s_waitcnt lgkmcnt(1)
	v_mul_f64 v[2:3], v[16:17], v[6:7]
	s_mov_b32 s0, 0x1e01e01e
	v_fmac_f64_e32 v[2:3], v[14:15], v[4:5]
	s_mov_b32 s1, 0x3f5e01e0
	v_mul_f64 v[12:13], v[2:3], s[0:1]
	v_mul_f64 v[2:3], v[16:17], v[4:5]
	v_fma_f64 v[2:3], v[14:15], v[6:7], -v[2:3]
	v_accvgpr_read_b32 v6, a2
	v_mul_f64 v[14:15], v[2:3], s[0:1]
	v_mad_u64_u32 v[2:3], s[2:3], s4, v6, 0
	v_mov_b32_e32 v4, v3
	v_mad_u64_u32 v[4:5], s[2:3], s5, v6, v[4:5]
	v_mov_b32_e32 v3, v4
	v_accvgpr_read_b32 v4, a52
	v_lshl_add_u64 v[0:1], v[60:61], 4, v[0:1]
	v_accvgpr_read_b32 v6, a54
	v_accvgpr_read_b32 v7, a55
	v_lshl_add_u64 v[16:17], v[2:3], 4, v[0:1]
	v_accvgpr_read_b32 v5, a53
	s_waitcnt lgkmcnt(0)
	v_mul_f64 v[0:1], v[6:7], v[10:11]
	v_mul_f64 v[2:3], v[6:7], v[8:9]
	v_fmac_f64_e32 v[0:1], v[4:5], v[8:9]
	v_fma_f64 v[2:3], v[4:5], v[10:11], -v[2:3]
	s_mul_i32 s2, s5, 42
	s_mul_hi_u32 s3, s4, 42
	ds_read_b128 v[4:7], v255 offset:1344
	s_add_i32 s3, s3, s2
	s_mul_i32 s2, s4, 42
	s_lshl_b64 s[2:3], s[2:3], 4
	global_store_dwordx4 v[16:17], v[12:15], off
	v_mul_f64 v[0:1], v[0:1], s[0:1]
	v_mul_f64 v[2:3], v[2:3], s[0:1]
	v_lshl_add_u64 v[12:13], v[16:17], 0, s[2:3]
	v_accvgpr_read_b32 v17, a11
	v_accvgpr_read_b32 v16, a10
	global_store_dwordx4 v[12:13], v[0:3], off
	ds_read_b128 v[0:3], v255 offset:2016
	v_accvgpr_read_b32 v15, a9
	v_accvgpr_read_b32 v14, a8
	s_waitcnt lgkmcnt(1)
	v_mul_f64 v[8:9], v[16:17], v[6:7]
	v_fmac_f64_e32 v[8:9], v[14:15], v[4:5]
	v_mul_f64 v[4:5], v[16:17], v[4:5]
	v_fma_f64 v[4:5], v[14:15], v[6:7], -v[4:5]
	v_mul_f64 v[8:9], v[8:9], s[0:1]
	v_mul_f64 v[10:11], v[4:5], s[0:1]
	v_lshl_add_u64 v[12:13], v[12:13], 0, s[2:3]
	global_store_dwordx4 v[12:13], v[8:11], off
	v_accvgpr_read_b32 v6, a36
	v_accvgpr_read_b32 v7, a37
	;; [unrolled: 1-line block ×4, first 2 shown]
	s_waitcnt lgkmcnt(0)
	v_mul_f64 v[4:5], v[8:9], v[2:3]
	v_fmac_f64_e32 v[4:5], v[6:7], v[0:1]
	v_mul_f64 v[0:1], v[8:9], v[0:1]
	v_fma_f64 v[6:7], v[6:7], v[2:3], -v[0:1]
	ds_read_b128 v[0:3], v255 offset:2688
	v_accvgpr_read_b32 v17, a15
	v_mul_f64 v[4:5], v[4:5], s[0:1]
	v_mul_f64 v[6:7], v[6:7], s[0:1]
	v_lshl_add_u64 v[12:13], v[12:13], 0, s[2:3]
	v_accvgpr_read_b32 v16, a14
	global_store_dwordx4 v[12:13], v[4:7], off
	ds_read_b128 v[4:7], v255 offset:3360
	v_accvgpr_read_b32 v15, a13
	v_accvgpr_read_b32 v14, a12
	s_waitcnt lgkmcnt(1)
	v_mul_f64 v[8:9], v[16:17], v[2:3]
	v_fmac_f64_e32 v[8:9], v[14:15], v[0:1]
	v_mul_f64 v[0:1], v[16:17], v[0:1]
	v_fma_f64 v[0:1], v[14:15], v[2:3], -v[0:1]
	v_mul_f64 v[8:9], v[8:9], s[0:1]
	v_mul_f64 v[10:11], v[0:1], s[0:1]
	v_lshl_add_u64 v[12:13], v[12:13], 0, s[2:3]
	global_store_dwordx4 v[12:13], v[8:11], off
	v_accvgpr_read_b32 v14, a16
	v_lshl_add_u64 v[12:13], v[12:13], 0, s[2:3]
	v_accvgpr_read_b32 v8, a32
	v_accvgpr_read_b32 v10, a34
	;; [unrolled: 1-line block ×4, first 2 shown]
	s_waitcnt lgkmcnt(0)
	v_mul_f64 v[0:1], v[10:11], v[6:7]
	v_mul_f64 v[2:3], v[10:11], v[4:5]
	v_fmac_f64_e32 v[0:1], v[8:9], v[4:5]
	v_fma_f64 v[2:3], v[8:9], v[6:7], -v[2:3]
	ds_read_b128 v[4:7], v255 offset:4032
	v_mul_f64 v[0:1], v[0:1], s[0:1]
	v_mul_f64 v[2:3], v[2:3], s[0:1]
	v_accvgpr_read_b32 v16, a18
	v_accvgpr_read_b32 v17, a19
	global_store_dwordx4 v[12:13], v[0:3], off
	ds_read_b128 v[0:3], v255 offset:4704
	v_accvgpr_read_b32 v15, a17
	s_waitcnt lgkmcnt(1)
	v_mul_f64 v[8:9], v[16:17], v[6:7]
	v_fmac_f64_e32 v[8:9], v[14:15], v[4:5]
	v_mul_f64 v[4:5], v[16:17], v[4:5]
	v_fma_f64 v[4:5], v[14:15], v[6:7], -v[4:5]
	v_mul_f64 v[8:9], v[8:9], s[0:1]
	v_mul_f64 v[10:11], v[4:5], s[0:1]
	v_lshl_add_u64 v[12:13], v[12:13], 0, s[2:3]
	global_store_dwordx4 v[12:13], v[8:11], off
	v_accvgpr_read_b32 v6, a44
	v_accvgpr_read_b32 v7, a45
	;; [unrolled: 1-line block ×4, first 2 shown]
	s_waitcnt lgkmcnt(0)
	v_mul_f64 v[4:5], v[8:9], v[2:3]
	v_fmac_f64_e32 v[4:5], v[6:7], v[0:1]
	v_mul_f64 v[0:1], v[8:9], v[0:1]
	v_fma_f64 v[6:7], v[6:7], v[2:3], -v[0:1]
	ds_read_b128 v[0:3], v255 offset:5376
	v_accvgpr_read_b32 v14, a24
	v_mul_f64 v[4:5], v[4:5], s[0:1]
	v_mul_f64 v[6:7], v[6:7], s[0:1]
	v_lshl_add_u64 v[12:13], v[12:13], 0, s[2:3]
	v_accvgpr_read_b32 v16, a26
	v_accvgpr_read_b32 v17, a27
	global_store_dwordx4 v[12:13], v[4:7], off
	ds_read_b128 v[4:7], v255 offset:6048
	v_accvgpr_read_b32 v15, a25
	s_waitcnt lgkmcnt(1)
	v_mul_f64 v[8:9], v[16:17], v[2:3]
	v_fmac_f64_e32 v[8:9], v[14:15], v[0:1]
	v_mul_f64 v[0:1], v[16:17], v[0:1]
	v_fma_f64 v[0:1], v[14:15], v[2:3], -v[0:1]
	v_mul_f64 v[8:9], v[8:9], s[0:1]
	v_mul_f64 v[10:11], v[0:1], s[0:1]
	v_lshl_add_u64 v[12:13], v[12:13], 0, s[2:3]
	global_store_dwordx4 v[12:13], v[8:11], off
	v_accvgpr_read_b32 v14, a20
	v_lshl_add_u64 v[12:13], v[12:13], 0, s[2:3]
	v_accvgpr_read_b32 v8, a40
	v_accvgpr_read_b32 v10, a42
	;; [unrolled: 1-line block ×4, first 2 shown]
	s_waitcnt lgkmcnt(0)
	v_mul_f64 v[0:1], v[10:11], v[6:7]
	v_mul_f64 v[2:3], v[10:11], v[4:5]
	v_fmac_f64_e32 v[0:1], v[8:9], v[4:5]
	v_fma_f64 v[2:3], v[8:9], v[6:7], -v[2:3]
	ds_read_b128 v[4:7], v255 offset:6720
	v_mul_f64 v[0:1], v[0:1], s[0:1]
	v_mul_f64 v[2:3], v[2:3], s[0:1]
	v_accvgpr_read_b32 v16, a22
	v_accvgpr_read_b32 v17, a23
	global_store_dwordx4 v[12:13], v[0:3], off
	ds_read_b128 v[0:3], v255 offset:7392
	v_accvgpr_read_b32 v15, a21
	s_waitcnt lgkmcnt(1)
	v_mul_f64 v[8:9], v[16:17], v[6:7]
	v_fmac_f64_e32 v[8:9], v[14:15], v[4:5]
	v_mul_f64 v[4:5], v[16:17], v[4:5]
	v_fma_f64 v[4:5], v[14:15], v[6:7], -v[4:5]
	v_mul_f64 v[8:9], v[8:9], s[0:1]
	v_mul_f64 v[10:11], v[4:5], s[0:1]
	v_lshl_add_u64 v[12:13], v[12:13], 0, s[2:3]
	global_store_dwordx4 v[12:13], v[8:11], off
	v_accvgpr_read_b32 v6, a28
	v_accvgpr_read_b32 v7, a29
	;; [unrolled: 1-line block ×4, first 2 shown]
	s_waitcnt lgkmcnt(0)
	v_mul_f64 v[4:5], v[8:9], v[2:3]
	v_fmac_f64_e32 v[4:5], v[6:7], v[0:1]
	v_mul_f64 v[0:1], v[8:9], v[0:1]
	ds_read_b128 v[8:11], v255 offset:8064
	v_fma_f64 v[0:1], v[6:7], v[2:3], -v[0:1]
	v_mul_f64 v[6:7], v[0:1], s[0:1]
	v_lshl_add_u64 v[0:1], v[12:13], 0, s[2:3]
	v_accvgpr_read_b32 v12, a48
	v_mul_f64 v[4:5], v[4:5], s[0:1]
	v_accvgpr_read_b32 v14, a50
	v_accvgpr_read_b32 v15, a51
	global_store_dwordx4 v[0:1], v[4:7], off
	v_accvgpr_read_b32 v13, a49
	s_waitcnt lgkmcnt(0)
	v_mul_f64 v[2:3], v[14:15], v[10:11]
	v_mul_f64 v[4:5], v[14:15], v[8:9]
	v_fmac_f64_e32 v[2:3], v[12:13], v[8:9]
	v_fma_f64 v[4:5], v[12:13], v[10:11], -v[4:5]
	v_mul_f64 v[2:3], v[2:3], s[0:1]
	v_mul_f64 v[4:5], v[4:5], s[0:1]
	v_lshl_add_u64 v[0:1], v[0:1], 0, s[2:3]
	global_store_dwordx4 v[0:1], v[2:5], off
	s_and_b64 exec, exec, vcc
	s_cbranch_execz .LBB0_23
; %bb.22:
	global_load_dwordx4 v[2:5], v[252:253], off offset:624
	ds_read_b128 v[6:9], v26 offset:624
	v_mov_b32_e32 v10, 0xffffe2f0
	s_mulk_i32 s5, 0xe2f0
	v_mad_u64_u32 v[12:13], s[6:7], s4, v10, v[0:1]
	s_sub_i32 s4, s5, s4
	v_add_u32_e32 v13, s4, v13
	s_movk_i32 s4, 0x1000
	s_waitcnt vmcnt(0) lgkmcnt(0)
	v_mul_f64 v[0:1], v[8:9], v[4:5]
	v_mul_f64 v[4:5], v[6:7], v[4:5]
	v_fmac_f64_e32 v[0:1], v[6:7], v[2:3]
	v_fma_f64 v[2:3], v[2:3], v[8:9], -v[4:5]
	v_mul_f64 v[0:1], v[0:1], s[0:1]
	v_mul_f64 v[2:3], v[2:3], s[0:1]
	global_store_dwordx4 v[12:13], v[0:3], off
	global_load_dwordx4 v[0:3], v[252:253], off offset:1296
	ds_read_b128 v[4:7], v255 offset:1296
	ds_read_b128 v[8:11], v255 offset:1968
	v_lshl_add_u64 v[12:13], v[12:13], 0, s[2:3]
	s_waitcnt vmcnt(0) lgkmcnt(1)
	v_mul_f64 v[14:15], v[6:7], v[2:3]
	v_mul_f64 v[2:3], v[4:5], v[2:3]
	v_fmac_f64_e32 v[14:15], v[4:5], v[0:1]
	v_fma_f64 v[2:3], v[0:1], v[6:7], -v[2:3]
	v_mul_f64 v[0:1], v[14:15], s[0:1]
	v_mul_f64 v[2:3], v[2:3], s[0:1]
	global_store_dwordx4 v[12:13], v[0:3], off
	global_load_dwordx4 v[0:3], v[252:253], off offset:1968
	v_lshl_add_u64 v[12:13], v[12:13], 0, s[2:3]
	s_waitcnt vmcnt(0) lgkmcnt(0)
	v_mul_f64 v[4:5], v[10:11], v[2:3]
	v_mul_f64 v[2:3], v[8:9], v[2:3]
	v_fmac_f64_e32 v[4:5], v[8:9], v[0:1]
	v_fma_f64 v[2:3], v[0:1], v[10:11], -v[2:3]
	v_mul_f64 v[0:1], v[4:5], s[0:1]
	v_mul_f64 v[2:3], v[2:3], s[0:1]
	global_store_dwordx4 v[12:13], v[0:3], off
	global_load_dwordx4 v[0:3], v[252:253], off offset:2640
	ds_read_b128 v[4:7], v255 offset:2640
	ds_read_b128 v[8:11], v255 offset:3312
	v_lshl_add_u64 v[12:13], v[12:13], 0, s[2:3]
	s_waitcnt vmcnt(0) lgkmcnt(1)
	v_mul_f64 v[14:15], v[6:7], v[2:3]
	v_mul_f64 v[2:3], v[4:5], v[2:3]
	v_fmac_f64_e32 v[14:15], v[4:5], v[0:1]
	v_fma_f64 v[2:3], v[0:1], v[6:7], -v[2:3]
	v_mul_f64 v[0:1], v[14:15], s[0:1]
	v_mul_f64 v[2:3], v[2:3], s[0:1]
	global_store_dwordx4 v[12:13], v[0:3], off
	global_load_dwordx4 v[0:3], v[252:253], off offset:3312
	v_lshl_add_u64 v[12:13], v[12:13], 0, s[2:3]
	v_add_co_u32_e32 v14, vcc, s4, v252
	s_movk_i32 s4, 0x2000
	s_nop 0
	v_addc_co_u32_e32 v15, vcc, 0, v253, vcc
	s_waitcnt vmcnt(0) lgkmcnt(0)
	v_mul_f64 v[4:5], v[10:11], v[2:3]
	v_mul_f64 v[2:3], v[8:9], v[2:3]
	v_fmac_f64_e32 v[4:5], v[8:9], v[0:1]
	v_fma_f64 v[2:3], v[0:1], v[10:11], -v[2:3]
	v_mul_f64 v[0:1], v[4:5], s[0:1]
	v_mul_f64 v[2:3], v[2:3], s[0:1]
	global_store_dwordx4 v[12:13], v[0:3], off
	global_load_dwordx4 v[0:3], v[252:253], off offset:3984
	ds_read_b128 v[4:7], v255 offset:3984
	ds_read_b128 v[8:11], v255 offset:4656
	v_lshl_add_u64 v[12:13], v[12:13], 0, s[2:3]
	s_waitcnt vmcnt(0) lgkmcnt(1)
	v_mul_f64 v[16:17], v[6:7], v[2:3]
	v_mul_f64 v[2:3], v[4:5], v[2:3]
	v_fmac_f64_e32 v[16:17], v[4:5], v[0:1]
	v_fma_f64 v[2:3], v[0:1], v[6:7], -v[2:3]
	v_mul_f64 v[0:1], v[16:17], s[0:1]
	v_mul_f64 v[2:3], v[2:3], s[0:1]
	global_store_dwordx4 v[12:13], v[0:3], off
	global_load_dwordx4 v[0:3], v[14:15], off offset:560
	v_lshl_add_u64 v[12:13], v[12:13], 0, s[2:3]
	s_waitcnt vmcnt(0) lgkmcnt(0)
	v_mul_f64 v[4:5], v[10:11], v[2:3]
	v_mul_f64 v[2:3], v[8:9], v[2:3]
	v_fmac_f64_e32 v[4:5], v[8:9], v[0:1]
	v_fma_f64 v[2:3], v[0:1], v[10:11], -v[2:3]
	v_mul_f64 v[0:1], v[4:5], s[0:1]
	v_mul_f64 v[2:3], v[2:3], s[0:1]
	global_store_dwordx4 v[12:13], v[0:3], off
	global_load_dwordx4 v[0:3], v[14:15], off offset:1232
	ds_read_b128 v[4:7], v255 offset:5328
	ds_read_b128 v[8:11], v255 offset:6000
	v_lshl_add_u64 v[12:13], v[12:13], 0, s[2:3]
	s_waitcnt vmcnt(0) lgkmcnt(1)
	v_mul_f64 v[16:17], v[6:7], v[2:3]
	v_mul_f64 v[2:3], v[4:5], v[2:3]
	v_fmac_f64_e32 v[16:17], v[4:5], v[0:1]
	v_fma_f64 v[2:3], v[0:1], v[6:7], -v[2:3]
	v_mul_f64 v[0:1], v[16:17], s[0:1]
	v_mul_f64 v[2:3], v[2:3], s[0:1]
	global_store_dwordx4 v[12:13], v[0:3], off
	global_load_dwordx4 v[0:3], v[14:15], off offset:1904
	v_lshl_add_u64 v[12:13], v[12:13], 0, s[2:3]
	;; [unrolled: 22-line block ×3, first 2 shown]
	s_waitcnt vmcnt(0) lgkmcnt(0)
	v_mul_f64 v[4:5], v[10:11], v[2:3]
	v_mul_f64 v[2:3], v[8:9], v[2:3]
	v_fmac_f64_e32 v[4:5], v[8:9], v[0:1]
	v_fma_f64 v[2:3], v[0:1], v[10:11], -v[2:3]
	v_mul_f64 v[0:1], v[4:5], s[0:1]
	v_mul_f64 v[2:3], v[2:3], s[0:1]
	global_store_dwordx4 v[12:13], v[0:3], off
	global_load_dwordx4 v[0:3], v[14:15], off offset:3920
	ds_read_b128 v[4:7], v255 offset:8016
	ds_read_b128 v[8:11], v255 offset:8688
	v_add_co_u32_e32 v14, vcc, s4, v252
	v_lshl_add_u64 v[12:13], v[12:13], 0, s[2:3]
	s_nop 0
	v_addc_co_u32_e32 v15, vcc, 0, v253, vcc
	s_waitcnt vmcnt(0) lgkmcnt(1)
	v_mul_f64 v[16:17], v[6:7], v[2:3]
	v_mul_f64 v[2:3], v[4:5], v[2:3]
	v_fmac_f64_e32 v[16:17], v[4:5], v[0:1]
	v_fma_f64 v[2:3], v[0:1], v[6:7], -v[2:3]
	v_mul_f64 v[0:1], v[16:17], s[0:1]
	v_mul_f64 v[2:3], v[2:3], s[0:1]
	global_store_dwordx4 v[12:13], v[0:3], off
	global_load_dwordx4 v[0:3], v[14:15], off offset:496
	s_waitcnt vmcnt(0) lgkmcnt(0)
	v_mul_f64 v[4:5], v[10:11], v[2:3]
	v_mul_f64 v[2:3], v[8:9], v[2:3]
	v_fmac_f64_e32 v[4:5], v[8:9], v[0:1]
	v_fma_f64 v[2:3], v[0:1], v[10:11], -v[2:3]
	v_mul_f64 v[0:1], v[4:5], s[0:1]
	v_mul_f64 v[2:3], v[2:3], s[0:1]
	v_lshl_add_u64 v[4:5], v[12:13], 0, s[2:3]
	global_store_dwordx4 v[4:5], v[0:3], off
.LBB0_23:
	s_endpgm
	.section	.rodata,"a",@progbits
	.p2align	6, 0x0
	.amdhsa_kernel bluestein_single_back_len546_dim1_dp_op_CI_CI
		.amdhsa_group_segment_fixed_size 26208
		.amdhsa_private_segment_fixed_size 0
		.amdhsa_kernarg_size 104
		.amdhsa_user_sgpr_count 2
		.amdhsa_user_sgpr_dispatch_ptr 0
		.amdhsa_user_sgpr_queue_ptr 0
		.amdhsa_user_sgpr_kernarg_segment_ptr 1
		.amdhsa_user_sgpr_dispatch_id 0
		.amdhsa_user_sgpr_kernarg_preload_length 0
		.amdhsa_user_sgpr_kernarg_preload_offset 0
		.amdhsa_user_sgpr_private_segment_size 0
		.amdhsa_uses_dynamic_stack 0
		.amdhsa_enable_private_segment 0
		.amdhsa_system_sgpr_workgroup_id_x 1
		.amdhsa_system_sgpr_workgroup_id_y 0
		.amdhsa_system_sgpr_workgroup_id_z 0
		.amdhsa_system_sgpr_workgroup_info 0
		.amdhsa_system_vgpr_workitem_id 0
		.amdhsa_next_free_vgpr 332
		.amdhsa_next_free_sgpr 48
		.amdhsa_accum_offset 256
		.amdhsa_reserve_vcc 1
		.amdhsa_float_round_mode_32 0
		.amdhsa_float_round_mode_16_64 0
		.amdhsa_float_denorm_mode_32 3
		.amdhsa_float_denorm_mode_16_64 3
		.amdhsa_dx10_clamp 1
		.amdhsa_ieee_mode 1
		.amdhsa_fp16_overflow 0
		.amdhsa_tg_split 0
		.amdhsa_exception_fp_ieee_invalid_op 0
		.amdhsa_exception_fp_denorm_src 0
		.amdhsa_exception_fp_ieee_div_zero 0
		.amdhsa_exception_fp_ieee_overflow 0
		.amdhsa_exception_fp_ieee_underflow 0
		.amdhsa_exception_fp_ieee_inexact 0
		.amdhsa_exception_int_div_zero 0
	.end_amdhsa_kernel
	.text
.Lfunc_end0:
	.size	bluestein_single_back_len546_dim1_dp_op_CI_CI, .Lfunc_end0-bluestein_single_back_len546_dim1_dp_op_CI_CI
                                        ; -- End function
	.section	.AMDGPU.csdata,"",@progbits
; Kernel info:
; codeLenInByte = 29272
; NumSgprs: 54
; NumVgprs: 256
; NumAgprs: 76
; TotalNumVgprs: 332
; ScratchSize: 0
; MemoryBound: 0
; FloatMode: 240
; IeeeMode: 1
; LDSByteSize: 26208 bytes/workgroup (compile time only)
; SGPRBlocks: 6
; VGPRBlocks: 41
; NumSGPRsForWavesPerEU: 54
; NumVGPRsForWavesPerEU: 332
; AccumOffset: 256
; Occupancy: 1
; WaveLimiterHint : 1
; COMPUTE_PGM_RSRC2:SCRATCH_EN: 0
; COMPUTE_PGM_RSRC2:USER_SGPR: 2
; COMPUTE_PGM_RSRC2:TRAP_HANDLER: 0
; COMPUTE_PGM_RSRC2:TGID_X_EN: 1
; COMPUTE_PGM_RSRC2:TGID_Y_EN: 0
; COMPUTE_PGM_RSRC2:TGID_Z_EN: 0
; COMPUTE_PGM_RSRC2:TIDIG_COMP_CNT: 0
; COMPUTE_PGM_RSRC3_GFX90A:ACCUM_OFFSET: 63
; COMPUTE_PGM_RSRC3_GFX90A:TG_SPLIT: 0
	.text
	.p2alignl 6, 3212836864
	.fill 256, 4, 3212836864
	.type	__hip_cuid_1e0894bdd2b5b441,@object ; @__hip_cuid_1e0894bdd2b5b441
	.section	.bss,"aw",@nobits
	.globl	__hip_cuid_1e0894bdd2b5b441
__hip_cuid_1e0894bdd2b5b441:
	.byte	0                               ; 0x0
	.size	__hip_cuid_1e0894bdd2b5b441, 1

	.ident	"AMD clang version 19.0.0git (https://github.com/RadeonOpenCompute/llvm-project roc-6.4.0 25133 c7fe45cf4b819c5991fe208aaa96edf142730f1d)"
	.section	".note.GNU-stack","",@progbits
	.addrsig
	.addrsig_sym __hip_cuid_1e0894bdd2b5b441
	.amdgpu_metadata
---
amdhsa.kernels:
  - .agpr_count:     76
    .args:
      - .actual_access:  read_only
        .address_space:  global
        .offset:         0
        .size:           8
        .value_kind:     global_buffer
      - .actual_access:  read_only
        .address_space:  global
        .offset:         8
        .size:           8
        .value_kind:     global_buffer
      - .actual_access:  read_only
        .address_space:  global
        .offset:         16
        .size:           8
        .value_kind:     global_buffer
      - .actual_access:  read_only
        .address_space:  global
        .offset:         24
        .size:           8
        .value_kind:     global_buffer
      - .actual_access:  read_only
        .address_space:  global
        .offset:         32
        .size:           8
        .value_kind:     global_buffer
      - .offset:         40
        .size:           8
        .value_kind:     by_value
      - .address_space:  global
        .offset:         48
        .size:           8
        .value_kind:     global_buffer
      - .address_space:  global
        .offset:         56
        .size:           8
        .value_kind:     global_buffer
      - .address_space:  global
        .offset:         64
        .size:           8
        .value_kind:     global_buffer
      - .address_space:  global
        .offset:         72
        .size:           8
        .value_kind:     global_buffer
      - .offset:         80
        .size:           4
        .value_kind:     by_value
      - .address_space:  global
        .offset:         88
        .size:           8
        .value_kind:     global_buffer
      - .address_space:  global
        .offset:         96
        .size:           8
        .value_kind:     global_buffer
    .group_segment_fixed_size: 26208
    .kernarg_segment_align: 8
    .kernarg_segment_size: 104
    .language:       OpenCL C
    .language_version:
      - 2
      - 0
    .max_flat_workgroup_size: 117
    .name:           bluestein_single_back_len546_dim1_dp_op_CI_CI
    .private_segment_fixed_size: 0
    .sgpr_count:     54
    .sgpr_spill_count: 0
    .symbol:         bluestein_single_back_len546_dim1_dp_op_CI_CI.kd
    .uniform_work_group_size: 1
    .uses_dynamic_stack: false
    .vgpr_count:     332
    .vgpr_spill_count: 0
    .wavefront_size: 64
amdhsa.target:   amdgcn-amd-amdhsa--gfx950
amdhsa.version:
  - 1
  - 2
...

	.end_amdgpu_metadata
